;; amdgpu-corpus repo=ROCm/composable_kernel kind=compiled arch=gfx950 opt=O3
	.amdgcn_target "amdgcn-amd-amdhsa--gfx950"
	.amdhsa_code_object_version 6
	.section	.text._ZN2ckL12flush_icacheEv,"axG",@progbits,_ZN2ckL12flush_icacheEv,comdat
	.globl	_ZN2ckL12flush_icacheEv         ; -- Begin function _ZN2ckL12flush_icacheEv
	.p2align	8
	.type	_ZN2ckL12flush_icacheEv,@function
_ZN2ckL12flush_icacheEv:                ; @_ZN2ckL12flush_icacheEv
; %bb.0:
	;;#ASMSTART
	s_icache_inv 
	s_nop 0 
	s_nop 0 
	;; [unrolled: 1-line block ×16, first 2 shown]
	
	;;#ASMEND
	s_endpgm
	.section	.rodata,"a",@progbits
	.p2align	6, 0x0
	.amdhsa_kernel _ZN2ckL12flush_icacheEv
		.amdhsa_group_segment_fixed_size 0
		.amdhsa_private_segment_fixed_size 0
		.amdhsa_kernarg_size 0
		.amdhsa_user_sgpr_count 0
		.amdhsa_user_sgpr_dispatch_ptr 0
		.amdhsa_user_sgpr_queue_ptr 0
		.amdhsa_user_sgpr_kernarg_segment_ptr 0
		.amdhsa_user_sgpr_dispatch_id 0
		.amdhsa_user_sgpr_kernarg_preload_length 0
		.amdhsa_user_sgpr_kernarg_preload_offset 0
		.amdhsa_user_sgpr_private_segment_size 0
		.amdhsa_uses_dynamic_stack 0
		.amdhsa_enable_private_segment 0
		.amdhsa_system_sgpr_workgroup_id_x 1
		.amdhsa_system_sgpr_workgroup_id_y 0
		.amdhsa_system_sgpr_workgroup_id_z 0
		.amdhsa_system_sgpr_workgroup_info 0
		.amdhsa_system_vgpr_workitem_id 0
		.amdhsa_next_free_vgpr 1
		.amdhsa_next_free_sgpr 0
		.amdhsa_accum_offset 4
		.amdhsa_reserve_vcc 0
		.amdhsa_float_round_mode_32 0
		.amdhsa_float_round_mode_16_64 0
		.amdhsa_float_denorm_mode_32 3
		.amdhsa_float_denorm_mode_16_64 3
		.amdhsa_dx10_clamp 1
		.amdhsa_ieee_mode 1
		.amdhsa_fp16_overflow 0
		.amdhsa_tg_split 0
		.amdhsa_exception_fp_ieee_invalid_op 0
		.amdhsa_exception_fp_denorm_src 0
		.amdhsa_exception_fp_ieee_div_zero 0
		.amdhsa_exception_fp_ieee_overflow 0
		.amdhsa_exception_fp_ieee_underflow 0
		.amdhsa_exception_fp_ieee_inexact 0
		.amdhsa_exception_int_div_zero 0
	.end_amdhsa_kernel
	.section	.text._ZN2ckL12flush_icacheEv,"axG",@progbits,_ZN2ckL12flush_icacheEv,comdat
.Lfunc_end0:
	.size	_ZN2ckL12flush_icacheEv, .Lfunc_end0-_ZN2ckL12flush_icacheEv
                                        ; -- End function
	.set _ZN2ckL12flush_icacheEv.num_vgpr, 0
	.set _ZN2ckL12flush_icacheEv.num_agpr, 0
	.set _ZN2ckL12flush_icacheEv.numbered_sgpr, 0
	.set _ZN2ckL12flush_icacheEv.num_named_barrier, 0
	.set _ZN2ckL12flush_icacheEv.private_seg_size, 0
	.set _ZN2ckL12flush_icacheEv.uses_vcc, 0
	.set _ZN2ckL12flush_icacheEv.uses_flat_scratch, 0
	.set _ZN2ckL12flush_icacheEv.has_dyn_sized_stack, 0
	.set _ZN2ckL12flush_icacheEv.has_recursion, 0
	.set _ZN2ckL12flush_icacheEv.has_indirect_call, 0
	.section	.AMDGPU.csdata,"",@progbits
; Kernel info:
; codeLenInByte = 276
; TotalNumSgprs: 6
; NumVgprs: 0
; NumAgprs: 0
; TotalNumVgprs: 0
; ScratchSize: 0
; MemoryBound: 0
; FloatMode: 240
; IeeeMode: 1
; LDSByteSize: 0 bytes/workgroup (compile time only)
; SGPRBlocks: 0
; VGPRBlocks: 0
; NumSGPRsForWavesPerEU: 6
; NumVGPRsForWavesPerEU: 1
; AccumOffset: 4
; Occupancy: 8
; WaveLimiterHint : 0
; COMPUTE_PGM_RSRC2:SCRATCH_EN: 0
; COMPUTE_PGM_RSRC2:USER_SGPR: 0
; COMPUTE_PGM_RSRC2:TRAP_HANDLER: 0
; COMPUTE_PGM_RSRC2:TGID_X_EN: 1
; COMPUTE_PGM_RSRC2:TGID_Y_EN: 0
; COMPUTE_PGM_RSRC2:TGID_Z_EN: 0
; COMPUTE_PGM_RSRC2:TIDIG_COMP_CNT: 0
; COMPUTE_PGM_RSRC3_GFX90A:ACCUM_OFFSET: 0
; COMPUTE_PGM_RSRC3_GFX90A:TG_SPLIT: 0
	.section	.text._ZN2ck27kernel_gemm_xdl_cshuffle_v1INS_43GridwiseGemm_k0mk1_k0nk1_mn_xdl_cshuffle_v1INS_13tensor_layout4gemm8RowMajorENS3_11ColumnMajorES4_NS_9f8_fnuz_tENS_10bf8_fnuz_tEffDF16_NS_16tensor_operation12element_wise11PassThroughESA_SA_LNS8_6device18GemmSpecializationE0ELNS_25InMemoryDataOperationEnumE0ELi1ELi256ELi256ELi128ELi64ELi16ELi16ELi16ELi16ELi8ELi4ENS_8SequenceIJLi4ELi64ELi1EEEENSE_IJLi1ELi0ELi2EEEESG_Li2ELi16ELi16ELb0ELi1ESF_SG_SG_Li2ELi8ELi8ELb0ELi1ELi1ELi1ENSE_IJLi1ELi32ELi1ELi8EEEELi4ELNS_13LoopSchedulerE0ELNS_15PipelineVersionE0ES6_S7_EELb1EEEvNT_8ArgumentE,"axG",@progbits,_ZN2ck27kernel_gemm_xdl_cshuffle_v1INS_43GridwiseGemm_k0mk1_k0nk1_mn_xdl_cshuffle_v1INS_13tensor_layout4gemm8RowMajorENS3_11ColumnMajorES4_NS_9f8_fnuz_tENS_10bf8_fnuz_tEffDF16_NS_16tensor_operation12element_wise11PassThroughESA_SA_LNS8_6device18GemmSpecializationE0ELNS_25InMemoryDataOperationEnumE0ELi1ELi256ELi256ELi128ELi64ELi16ELi16ELi16ELi16ELi8ELi4ENS_8SequenceIJLi4ELi64ELi1EEEENSE_IJLi1ELi0ELi2EEEESG_Li2ELi16ELi16ELb0ELi1ESF_SG_SG_Li2ELi8ELi8ELb0ELi1ELi1ELi1ENSE_IJLi1ELi32ELi1ELi8EEEELi4ELNS_13LoopSchedulerE0ELNS_15PipelineVersionE0ES6_S7_EELb1EEEvNT_8ArgumentE,comdat
	.protected	_ZN2ck27kernel_gemm_xdl_cshuffle_v1INS_43GridwiseGemm_k0mk1_k0nk1_mn_xdl_cshuffle_v1INS_13tensor_layout4gemm8RowMajorENS3_11ColumnMajorES4_NS_9f8_fnuz_tENS_10bf8_fnuz_tEffDF16_NS_16tensor_operation12element_wise11PassThroughESA_SA_LNS8_6device18GemmSpecializationE0ELNS_25InMemoryDataOperationEnumE0ELi1ELi256ELi256ELi128ELi64ELi16ELi16ELi16ELi16ELi8ELi4ENS_8SequenceIJLi4ELi64ELi1EEEENSE_IJLi1ELi0ELi2EEEESG_Li2ELi16ELi16ELb0ELi1ESF_SG_SG_Li2ELi8ELi8ELb0ELi1ELi1ELi1ENSE_IJLi1ELi32ELi1ELi8EEEELi4ELNS_13LoopSchedulerE0ELNS_15PipelineVersionE0ES6_S7_EELb1EEEvNT_8ArgumentE ; -- Begin function _ZN2ck27kernel_gemm_xdl_cshuffle_v1INS_43GridwiseGemm_k0mk1_k0nk1_mn_xdl_cshuffle_v1INS_13tensor_layout4gemm8RowMajorENS3_11ColumnMajorES4_NS_9f8_fnuz_tENS_10bf8_fnuz_tEffDF16_NS_16tensor_operation12element_wise11PassThroughESA_SA_LNS8_6device18GemmSpecializationE0ELNS_25InMemoryDataOperationEnumE0ELi1ELi256ELi256ELi128ELi64ELi16ELi16ELi16ELi16ELi8ELi4ENS_8SequenceIJLi4ELi64ELi1EEEENSE_IJLi1ELi0ELi2EEEESG_Li2ELi16ELi16ELb0ELi1ESF_SG_SG_Li2ELi8ELi8ELb0ELi1ELi1ELi1ENSE_IJLi1ELi32ELi1ELi8EEEELi4ELNS_13LoopSchedulerE0ELNS_15PipelineVersionE0ES6_S7_EELb1EEEvNT_8ArgumentE
	.globl	_ZN2ck27kernel_gemm_xdl_cshuffle_v1INS_43GridwiseGemm_k0mk1_k0nk1_mn_xdl_cshuffle_v1INS_13tensor_layout4gemm8RowMajorENS3_11ColumnMajorES4_NS_9f8_fnuz_tENS_10bf8_fnuz_tEffDF16_NS_16tensor_operation12element_wise11PassThroughESA_SA_LNS8_6device18GemmSpecializationE0ELNS_25InMemoryDataOperationEnumE0ELi1ELi256ELi256ELi128ELi64ELi16ELi16ELi16ELi16ELi8ELi4ENS_8SequenceIJLi4ELi64ELi1EEEENSE_IJLi1ELi0ELi2EEEESG_Li2ELi16ELi16ELb0ELi1ESF_SG_SG_Li2ELi8ELi8ELb0ELi1ELi1ELi1ENSE_IJLi1ELi32ELi1ELi8EEEELi4ELNS_13LoopSchedulerE0ELNS_15PipelineVersionE0ES6_S7_EELb1EEEvNT_8ArgumentE
	.p2align	8
	.type	_ZN2ck27kernel_gemm_xdl_cshuffle_v1INS_43GridwiseGemm_k0mk1_k0nk1_mn_xdl_cshuffle_v1INS_13tensor_layout4gemm8RowMajorENS3_11ColumnMajorES4_NS_9f8_fnuz_tENS_10bf8_fnuz_tEffDF16_NS_16tensor_operation12element_wise11PassThroughESA_SA_LNS8_6device18GemmSpecializationE0ELNS_25InMemoryDataOperationEnumE0ELi1ELi256ELi256ELi128ELi64ELi16ELi16ELi16ELi16ELi8ELi4ENS_8SequenceIJLi4ELi64ELi1EEEENSE_IJLi1ELi0ELi2EEEESG_Li2ELi16ELi16ELb0ELi1ESF_SG_SG_Li2ELi8ELi8ELb0ELi1ELi1ELi1ENSE_IJLi1ELi32ELi1ELi8EEEELi4ELNS_13LoopSchedulerE0ELNS_15PipelineVersionE0ES6_S7_EELb1EEEvNT_8ArgumentE,@function
_ZN2ck27kernel_gemm_xdl_cshuffle_v1INS_43GridwiseGemm_k0mk1_k0nk1_mn_xdl_cshuffle_v1INS_13tensor_layout4gemm8RowMajorENS3_11ColumnMajorES4_NS_9f8_fnuz_tENS_10bf8_fnuz_tEffDF16_NS_16tensor_operation12element_wise11PassThroughESA_SA_LNS8_6device18GemmSpecializationE0ELNS_25InMemoryDataOperationEnumE0ELi1ELi256ELi256ELi128ELi64ELi16ELi16ELi16ELi16ELi8ELi4ENS_8SequenceIJLi4ELi64ELi1EEEENSE_IJLi1ELi0ELi2EEEESG_Li2ELi16ELi16ELb0ELi1ESF_SG_SG_Li2ELi8ELi8ELb0ELi1ELi1ELi1ENSE_IJLi1ELi32ELi1ELi8EEEELi4ELNS_13LoopSchedulerE0ELNS_15PipelineVersionE0ES6_S7_EELb1EEEvNT_8ArgumentE: ; @_ZN2ck27kernel_gemm_xdl_cshuffle_v1INS_43GridwiseGemm_k0mk1_k0nk1_mn_xdl_cshuffle_v1INS_13tensor_layout4gemm8RowMajorENS3_11ColumnMajorES4_NS_9f8_fnuz_tENS_10bf8_fnuz_tEffDF16_NS_16tensor_operation12element_wise11PassThroughESA_SA_LNS8_6device18GemmSpecializationE0ELNS_25InMemoryDataOperationEnumE0ELi1ELi256ELi256ELi128ELi64ELi16ELi16ELi16ELi16ELi8ELi4ENS_8SequenceIJLi4ELi64ELi1EEEENSE_IJLi1ELi0ELi2EEEESG_Li2ELi16ELi16ELb0ELi1ESF_SG_SG_Li2ELi8ELi8ELb0ELi1ELi1ELi1ENSE_IJLi1ELi32ELi1ELi8EEEELi4ELNS_13LoopSchedulerE0ELNS_15PipelineVersionE0ES6_S7_EELb1EEEvNT_8ArgumentE
; %bb.0:
	s_load_dwordx4 s[4:7], s[0:1], 0x10
	s_load_dwordx2 s[24:25], s[0:1], 0x20
	s_ashr_i32 s10, s2, 31
	s_abs_i32 s2, s2
	v_lshrrev_b32_e32 v2, 1, v0
	s_waitcnt lgkmcnt(0)
	s_add_i32 s8, s4, 0xff
	s_ashr_i32 s9, s8, 31
	s_add_i32 s3, s5, 0x7f
	s_lshr_b32 s9, s9, 24
	s_add_i32 s8, s8, s9
	s_ashr_i32 s9, s3, 31
	s_lshr_b32 s9, s9, 25
	s_add_i32 s3, s3, s9
	s_ashr_i32 s8, s8, 8
	s_ashr_i32 s3, s3, 7
	s_mul_i32 s9, s3, s8
	s_abs_i32 s9, s9
	v_cvt_f32_u32_e32 v1, s9
	s_sub_i32 s11, 0, s9
	s_add_i32 s27, s4, -1
	s_add_i32 s4, s5, -1
	v_rcp_iflag_f32_e32 v1, v1
	s_mul_i32 s20, s4, s24
	v_and_b32_e32 v31, 0x7e, v2
	s_mul_i32 s16, s27, s7
	v_mul_f32_e32 v1, 0x4f7ffffe, v1
	v_cvt_u32_f32_e32 v1, v1
	v_and_b32_e32 v28, 3, v0
	v_and_b32_e32 v7, 0xfc, v0
	v_lshlrev_b32_e32 v168, 4, v28
	v_readfirstlane_b32 s12, v1
	s_mul_i32 s11, s11, s12
	s_mul_hi_u32 s11, s12, s11
	s_add_i32 s12, s12, s11
	s_mul_hi_u32 s11, s2, s12
	s_mul_i32 s11, s11, s9
	s_sub_i32 s2, s2, s11
	s_sub_i32 s11, s2, s9
	s_cmp_ge_u32 s2, s9
	s_cselect_b32 s2, s11, s2
	s_sub_i32 s11, s2, s9
	s_cmp_ge_u32 s2, s9
	s_cselect_b32 s2, s11, s2
	s_abs_i32 s9, s3
	v_cvt_f32_u32_e32 v1, s9
	s_sub_i32 s17, 0, s9
	s_xor_b32 s2, s2, s10
	s_sub_i32 s2, s2, s10
	v_rcp_iflag_f32_e32 v1, v1
	s_abs_i32 s10, s2
	s_xor_b32 s4, s2, s3
	s_ashr_i32 s4, s4, 31
	v_mul_f32_e32 v1, 0x4f7ffffe, v1
	v_cvt_u32_f32_e32 v1, v1
	s_load_dword s11, s[0:1], 0x34
	s_load_dwordx4 s[12:15], s[0:1], 0x48
	v_or3_b32 v172, 0, 0, 0
	v_and_b32_e32 v166, 15, v0
	v_readfirstlane_b32 s18, v1
	s_mul_i32 s17, s17, s18
	s_mul_hi_u32 s17, s18, s17
	s_add_i32 s18, s18, s17
	s_mul_hi_u32 s17, s10, s18
	s_mul_i32 s18, s17, s9
	s_sub_i32 s10, s10, s18
	s_add_i32 s18, s17, 1
	s_sub_i32 s19, s10, s9
	s_cmp_ge_u32 s10, s9
	s_cselect_b32 s17, s18, s17
	s_cselect_b32 s10, s19, s10
	s_add_i32 s18, s17, 1
	s_cmp_ge_u32 s10, s9
	s_cselect_b32 s9, s18, s17
	s_xor_b32 s9, s9, s4
	s_sub_i32 s4, s9, s4
	s_lshr_b32 s9, s8, 29
	s_add_i32 s9, s8, s9
	s_and_b32 s9, s9, -8
	s_sub_i32 s8, s8, s9
	s_cmp_ge_i32 s4, s9
	s_cselect_b32 s8, s8, 8
	s_abs_i32 s10, s8
	v_cvt_f32_u32_e32 v1, s10
	s_mul_i32 s9, s4, s3
	s_sub_i32 s2, s2, s9
	s_ashr_i32 s9, s4, 31
	v_rcp_iflag_f32_e32 v1, v1
	s_lshr_b32 s9, s9, 29
	s_add_i32 s9, s4, s9
	s_and_b32 s9, s9, -8
	v_mul_f32_e32 v1, 0x4f7ffffe, v1
	v_cvt_u32_f32_e32 v1, v1
	s_sub_i32 s4, s4, s9
	s_sub_i32 s17, 0, s10
	s_mul_i32 s3, s4, s3
	v_readfirstlane_b32 s18, v1
	s_mul_i32 s17, s17, s18
	s_add_i32 s3, s3, s2
	s_mul_hi_u32 s17, s18, s17
	s_abs_i32 s4, s3
	s_add_i32 s18, s18, s17
	s_mul_hi_u32 s17, s4, s18
	s_mul_i32 s18, s17, s10
	s_xor_b32 s2, s3, s8
	s_sub_i32 s4, s4, s18
	s_ashr_i32 s2, s2, 31
	s_add_i32 s18, s17, 1
	s_sub_i32 s19, s4, s10
	s_cmp_ge_u32 s4, s10
	s_cselect_b32 s17, s18, s17
	s_cselect_b32 s4, s19, s4
	s_add_i32 s18, s17, 1
	s_cmp_ge_u32 s4, s10
	s_cselect_b32 s4, s18, s17
	s_xor_b32 s4, s4, s2
	s_sub_i32 s26, s4, s2
	s_mul_i32 s2, s26, s8
	s_sub_i32 s2, s3, s2
	s_add_i32 s4, s9, s2
	s_waitcnt lgkmcnt(0)
	s_ashr_i32 s2, s11, 31
	s_lshr_b32 s2, s2, 30
	s_add_i32 s11, s11, s2
	s_ashr_i32 s28, s11, 2
	v_lshl_or_b32 v2, s26, 7, v31
	s_add_u32 s2, 0, 0
	v_mul_lo_u32 v169, v2, s24
	s_addc_u32 s2, s16, s6
	s_and_b32 s17, s13, 0xffff
	v_lshl_or_b32 v29, s4, 8, v7
	v_add_u32_e32 v6, v169, v168
	s_add_u32 s8, 0, 0
	v_mul_lo_u32 v30, v29, s7
	s_mov_b32 s3, 0x20000
	s_addc_u32 s10, s20, s6
	v_add_u32_e32 v32, s24, v6
	v_add_u32_e32 v1, v30, v168
	s_mov_b32 s16, s12
	s_mov_b32 s18, s2
	;; [unrolled: 1-line block ×3, first 2 shown]
	s_and_b32 s21, s15, 0xffff
	s_mov_b32 s20, s14
	s_mov_b32 s22, s10
	;; [unrolled: 1-line block ×3, first 2 shown]
	v_add_u32_e32 v16, 8, v32
	v_add_u32_e32 v12, s7, v1
	buffer_load_dwordx4 v[2:5], v1, s[16:19], 0 offen
	buffer_load_dwordx4 v[8:11], v12, s[16:19], 0 offen
	buffer_load_dwordx2 v[24:25], v16, s[20:23], 0 offen
	v_add_u32_e32 v1, s7, v12
	buffer_load_dwordx4 v[12:15], v1, s[16:19], 0 offen
	v_add_u32_e32 v1, s7, v1
	buffer_load_dwordx4 v[16:19], v1, s[16:19], 0 offen
	buffer_load_dwordx4 v[20:23], v6, s[20:23], 0 offen
	buffer_load_dwordx2 v[26:27], v32, s[20:23], 0 offen
	s_movk_i32 s8, 0x1010
	v_lshlrev_b32_e32 v7, 4, v7
	v_mad_u32_u24 v38, v28, s8, v7
	s_movk_i32 s9, 0x810
	s_load_dwordx2 s[18:19], s[0:1], 0x58
	v_lshlrev_b32_e32 v31, 4, v31
	v_lshrrev_b32_e32 v1, 3, v0
	v_mul_u32_u24_e32 v33, 0x1010, v28
	v_mul_u32_u24_e32 v34, 0x810, v28
	v_mad_u32_u24 v28, v28, s9, v31
	v_bfe_u32 v32, v0, 4, 2
	v_lshlrev_b32_e32 v167, 2, v0
	v_and_or_b32 v35, v1, 16, v166
	v_lshlrev_b32_e32 v37, 4, v166
	s_movk_i32 s13, 0x100
	v_or_b32_e32 v130, 3, v29
	v_or_b32_e32 v131, 2, v29
	v_mov_b32_e32 v6, 0
	v_mul_u32_u24_e32 v36, 0x1010, v32
	v_mul_u32_u24_e32 v32, 0x810, v32
	v_lshlrev_b32_e32 v35, 4, v35
	s_mov_b32 s0, s12
	s_mov_b32 s8, s14
	s_max_i32 s12, s28, 2
	v_add_u32_e32 v173, 64, v30
	v_add_u32_e32 v175, v31, v34
	v_mad_u64_u32 v[162:163], s[14:15], s7, v130, 64
	v_mad_u64_u32 v[164:165], s[14:15], s7, v131, 64
	s_mov_b32 s6, 0xff00
	s_mov_b32 s11, s3
	;; [unrolled: 1-line block ×4, first 2 shown]
	s_add_i32 s12, s12, -1
	v_add_u32_e32 v170, v35, v36
	v_add_u32_e32 v174, v33, v7
	v_mov_b32_e32 v7, v6
	v_mov_b32_e32 v29, v6
	;; [unrolled: 1-line block ×4, first 2 shown]
	s_waitcnt vmcnt(6)
	ds_write_b128 v38, v[2:5]
	s_waitcnt vmcnt(5)
	ds_write_b128 v38, v[8:11] offset:16
	s_waitcnt vmcnt(3)
	ds_write_b128 v38, v[12:15] offset:32
	v_and_b32_e32 v2, 0xffff0000, v25
	v_and_b32_e32 v3, 0xff, v25
	;; [unrolled: 1-line block ×3, first 2 shown]
	v_or3_b32 v2, v4, v2, v3
	v_and_b32_e32 v4, 0xff0000, v24
	v_and_b32_e32 v5, 0xff000000, v24
	v_and_b32_e32 v8, 0xff00, v24
	v_or3_b32 v3, v2, 0, 0
	v_or3_b32 v2, v172, v5, v4
	v_and_b32_e32 v4, 0xff, v24
	v_or3_b32 v2, v2, v8, v4
	v_add_u32_e32 v4, 0x4000, v28
	s_waitcnt vmcnt(2)
	ds_write_b128 v38, v[16:19] offset:48
	s_waitcnt vmcnt(1)
	ds_write_b128 v28, v[20:23] offset:16432
	s_waitcnt vmcnt(0)
	ds_write2_b64 v4, v[26:27], v[2:3] offset0:8 offset1:9
	v_and_or_b32 v2, v167, s13, v37
	v_add_u32_e32 v171, v2, v32
	v_mov_b32_e32 v8, v6
	v_mov_b32_e32 v9, v6
	;; [unrolled: 1-line block ×123, first 2 shown]
	v_add_u32_e32 v176, s24, v169
	v_add_u32_e32 v163, s7, v173
	;; [unrolled: 1-line block ×3, first 2 shown]
.LBB1_1:                                ; =>This Inner Loop Header: Depth=1
	v_add_u32_e32 v130, v168, v173
	v_add_u32_e32 v134, v168, v163
	;; [unrolled: 1-line block ×4, first 2 shown]
	buffer_load_dwordx4 v[130:133], v130, s[0:3], 0 offen
	s_nop 0
	buffer_load_dwordx4 v[134:137], v134, s[0:3], 0 offen
	s_nop 0
	;; [unrolled: 2-line block ×3, first 2 shown]
	buffer_load_dwordx4 v[142:145], v142, s[0:3], 0 offen
	s_waitcnt lgkmcnt(0)
	s_barrier
	ds_read_b128 v[178:181], v170
	ds_read_b128 v[146:149], v171 offset:16432
	ds_read_b128 v[150:153], v171 offset:16944
	;; [unrolled: 1-line block ×11, first 2 shown]
	s_waitcnt lgkmcnt(10)
	v_mfma_f32_16x16x32_fp8_bf8 v[126:129], v[178:179], v[146:147], v[126:129]
	s_add_i32 s12, s12, -1
	v_add_u32_e32 v162, 64, v162
	v_add_u32_e32 v164, 64, v164
	s_waitcnt lgkmcnt(9)
	v_mfma_f32_16x16x32_fp8_bf8 v[122:125], v[178:179], v[150:151], v[122:125]
	v_add_u32_e32 v163, 64, v163
	v_add_u32_e32 v173, 64, v173
	s_cmp_lg_u32 s12, 0
	s_waitcnt lgkmcnt(7)
	v_mfma_f32_16x16x32_fp8_bf8 v[118:121], v[178:179], v[158:159], v[118:121]
	s_waitcnt lgkmcnt(6)
	v_mfma_f32_16x16x32_fp8_bf8 v[114:117], v[178:179], v[154:155], v[114:117]
	v_mfma_f32_16x16x32_fp8_bf8 v[110:113], v[182:183], v[146:147], v[110:113]
	s_waitcnt lgkmcnt(5)
	v_mfma_f32_16x16x32_fp8_bf8 v[94:97], v[186:187], v[146:147], v[94:97]
	s_waitcnt lgkmcnt(4)
	v_mfma_f32_16x16x32_fp8_bf8 v[78:81], v[190:191], v[146:147], v[78:81]
	s_waitcnt lgkmcnt(3)
	v_mfma_f32_16x16x32_fp8_bf8 v[62:65], v[194:195], v[146:147], v[62:65]
	s_waitcnt lgkmcnt(2)
	v_mfma_f32_16x16x32_fp8_bf8 v[46:49], v[198:199], v[146:147], v[46:49]
	s_waitcnt lgkmcnt(1)
	v_mfma_f32_16x16x32_fp8_bf8 v[22:25], v[202:203], v[146:147], v[22:25]
	s_waitcnt lgkmcnt(0)
	v_mfma_f32_16x16x32_fp8_bf8 v[30:33], v[206:207], v[146:147], v[30:33]
	v_add_u32_e32 v147, v168, v176
	v_add_u32_e32 v146, v168, v169
	;; [unrolled: 1-line block ×3, first 2 shown]
	v_mfma_f32_16x16x32_fp8_bf8 v[106:109], v[182:183], v[150:151], v[106:109]
	v_add_u32_e32 v169, 64, v169
	v_mfma_f32_16x16x32_fp8_bf8 v[102:105], v[182:183], v[158:159], v[102:105]
	v_mfma_f32_16x16x32_fp8_bf8 v[98:101], v[182:183], v[154:155], v[98:101]
	;; [unrolled: 1-line block ×6, first 2 shown]
	buffer_load_dwordx4 v[178:181], v147, s[8:11], 0 offen offset:64
	v_mfma_f32_16x16x32_fp8_bf8 v[110:113], v[184:185], v[148:149], v[110:113]
	v_mfma_f32_16x16x32_fp8_bf8 v[106:109], v[184:185], v[152:153], v[106:109]
	;; [unrolled: 1-line block ×4, first 2 shown]
	buffer_load_dwordx4 v[182:185], v146, s[8:11], 0 offen offset:64
	s_waitcnt lgkmcnt(0)
	s_barrier
	v_mfma_f32_16x16x32_fp8_bf8 v[90:93], v[186:187], v[150:151], v[90:93]
	s_waitcnt vmcnt(5)
	ds_write_b128 v174, v[130:133]
	s_waitcnt vmcnt(4)
	ds_write_b128 v174, v[134:137] offset:16
	s_waitcnt vmcnt(3)
	ds_write_b128 v174, v[138:141] offset:32
	;; [unrolled: 2-line block ×4, first 2 shown]
	v_mfma_f32_16x16x32_fp8_bf8 v[86:89], v[186:187], v[158:159], v[86:89]
	v_and_b32_e32 v130, 0xffff0000, v181
	v_and_b32_e32 v131, 0xff, v181
	;; [unrolled: 1-line block ×3, first 2 shown]
	v_mfma_f32_16x16x32_fp8_bf8 v[82:85], v[186:187], v[154:155], v[82:85]
	v_and_b32_e32 v133, 0xff0000, v180
	v_and_b32_e32 v134, 0xff000000, v180
	v_or3_b32 v130, v132, v130, v131
	v_mfma_f32_16x16x32_fp8_bf8 v[74:77], v[190:191], v[150:151], v[74:77]
	v_or3_b32 v132, v172, v134, v133
	v_or3_b32 v131, v130, 0, 0
	v_and_or_b32 v130, v180, s6, v132
	v_mfma_f32_16x16x32_fp8_bf8 v[70:73], v[190:191], v[158:159], v[70:73]
	v_or_b32_sdwa v130, v130, v180 dst_sel:DWORD dst_unused:UNUSED_PAD src0_sel:DWORD src1_sel:BYTE_0
	ds_write2_b64 v165, v[178:179], v[130:131] offset0:8 offset1:9
	v_mfma_f32_16x16x32_fp8_bf8 v[66:69], v[190:191], v[154:155], v[66:69]
	v_mfma_f32_16x16x32_fp8_bf8 v[58:61], v[194:195], v[150:151], v[58:61]
	;; [unrolled: 1-line block ×37, first 2 shown]
	s_cbranch_scc1 .LBB1_1
; %bb.2:
	s_waitcnt lgkmcnt(0)
	s_barrier
	ds_read_b128 v[146:149], v170
	ds_read_b128 v[130:133], v171 offset:16432
	ds_read_b128 v[134:137], v171 offset:16944
	;; [unrolled: 1-line block ×3, first 2 shown]
	s_waitcnt lgkmcnt(2)
	v_mfma_f32_16x16x32_fp8_bf8 v[126:129], v[146:147], v[130:131], v[126:129]
	s_mul_i32 s0, s27, s25
	s_mul_hi_u32 s1, 0, s25
	s_add_i32 s2, s1, s0
	s_waitcnt lgkmcnt(1)
	v_mfma_f32_16x16x32_fp8_bf8 v[138:141], v[146:147], v[134:135], v[122:125]
	s_mov_b32 s3, 0x20000
	s_nop 1
	ds_read_b128 v[122:125], v171 offset:17456
	v_mfma_f32_16x16x32_fp8_bf8 v[154:157], v[148:149], v[132:133], v[126:129]
	s_nop 2
	ds_read_b128 v[126:129], v171 offset:17968
	ds_read_b128 v[162:165], v170 offset:1024
	;; [unrolled: 1-line block ×3, first 2 shown]
	s_waitcnt lgkmcnt(3)
	v_mfma_f32_16x16x32_fp8_bf8 v[176:179], v[146:147], v[122:123], v[118:121]
	s_waitcnt lgkmcnt(2)
	v_mfma_f32_16x16x32_fp8_bf8 v[114:117], v[146:147], v[126:127], v[114:117]
	v_and_b32_e32 v146, 28, v167
	v_mfma_f32_16x16x32_fp8_bf8 v[158:161], v[148:149], v[136:137], v[138:141]
	ds_read_b128 v[180:183], v170 offset:2048
	ds_read_b128 v[142:145], v170 offset:2560
	s_nop 0
	ds_read_b128 v[138:141], v170 offset:3072
	ds_read_b128 v[118:121], v170 offset:3584
	s_waitcnt lgkmcnt(0)
	s_barrier
	v_mfma_f32_16x16x32_fp8_bf8 v[168:171], v[148:149], v[124:125], v[176:179]
	s_nop 2
	v_lshrrev_b32_e32 v176, 2, v0
	v_and_b32_e32 v176, 12, v176
	v_and_or_b32 v177, v1, 16, v176
	v_mfma_f32_16x16x32_fp8_bf8 v[114:117], v[148:149], v[128:129], v[114:117]
	v_and_b32_e32 v0, 64, v0
	v_lshlrev_b32_e32 v147, 7, v177
	v_lshlrev_b32_e32 v148, 2, v166
	v_or3_b32 v166, v0, v147, v148
	v_lshlrev_b32_e32 v0, 2, v146
	ds_write2_b32 v166, v154, v155 offset1:32
	v_lshl_or_b32 v154, v1, 7, v0
	v_lshl_or_b32 v176, s26, 7, v146
	ds_write2_b32 v166, v156, v157 offset0:64 offset1:96
	s_waitcnt lgkmcnt(0)
	s_barrier
	ds_read_b128 v[146:149], v154
	v_lshl_or_b32 v0, s4, 8, v1
	v_mad_u64_u32 v[0:1], s[0:1], v0, s25, v[176:177]
	s_add_i32 s0, s5, s2
	s_waitcnt lgkmcnt(0)
	v_cvt_pk_f16_f32 v149, v148, v149
	v_cvt_pk_f16_f32 v148, v146, v147
	s_lshl_b32 s2, s0, 1
	s_and_b32 s1, s19, 0xffff
	s_mov_b32 s0, s18
	v_lshlrev_b32_e32 v1, 1, v0
	buffer_store_dwordx2 v[148:149], v1, s[0:3], 0 offen
	s_waitcnt lgkmcnt(0)
	s_barrier
	ds_write2_b32 v166, v158, v159 offset1:32
	ds_write2_b32 v166, v160, v161 offset0:64 offset1:96
	s_waitcnt lgkmcnt(0)
	s_barrier
	ds_read_b128 v[146:149], v154
	v_mfma_f32_16x16x32_fp8_bf8 v[98:101], v[150:151], v[126:127], v[98:101]
	s_lshl_b32 s4, s25, 5
	s_waitcnt lgkmcnt(0)
	v_cvt_pk_f16_f32 v149, v148, v149
	v_cvt_pk_f16_f32 v148, v146, v147
	buffer_store_dwordx2 v[148:149], v1, s[0:3], 0 offen offset:64
	s_waitcnt lgkmcnt(0)
	s_barrier
	ds_write2_b32 v166, v168, v169 offset1:32
	ds_write2_b32 v166, v170, v171 offset0:64 offset1:96
	s_waitcnt lgkmcnt(0)
	s_barrier
	ds_read_b128 v[146:149], v154
	v_mfma_f32_16x16x32_fp8_bf8 v[98:101], v[152:153], v[128:129], v[98:101]
	s_waitcnt lgkmcnt(0)
	v_cvt_pk_f16_f32 v149, v148, v149
	v_cvt_pk_f16_f32 v148, v146, v147
	buffer_store_dwordx2 v[148:149], v1, s[0:3], 0 offen offset:128
	s_waitcnt lgkmcnt(0)
	s_barrier
	ds_write2_b32 v166, v114, v115 offset1:32
	ds_write2_b32 v166, v116, v117 offset0:64 offset1:96
	s_waitcnt lgkmcnt(0)
	s_barrier
	ds_read_b128 v[114:117], v154
	v_mfma_f32_16x16x32_fp8_bf8 v[102:105], v[150:151], v[122:123], v[102:105]
	v_add_u32_e32 v1, 0x60, v0
	s_waitcnt lgkmcnt(0)
	v_cvt_pk_f16_f32 v117, v116, v117
	v_cvt_pk_f16_f32 v116, v114, v115
	v_lshlrev_b32_e32 v114, 1, v1
	buffer_store_dwordx2 v[116:117], v114, s[0:3], 0 offen
	s_waitcnt lgkmcnt(0)
	s_barrier
	ds_write2_b32 v166, v98, v99 offset1:32
	ds_write2_b32 v166, v100, v101 offset0:64 offset1:96
	s_waitcnt lgkmcnt(0)
	s_barrier
	ds_read_b128 v[98:101], v154
	v_mfma_f32_16x16x32_fp8_bf8 v[102:105], v[152:153], v[124:125], v[102:105]
	v_add_lshl_u32 v1, v1, s4, 1
	s_waitcnt lgkmcnt(0)
	v_cvt_pk_f16_f32 v101, v100, v101
	v_mfma_f32_16x16x32_fp8_bf8 v[106:109], v[150:151], v[134:135], v[106:109]
	v_cvt_pk_f16_f32 v100, v98, v99
	buffer_store_dwordx2 v[100:101], v1, s[0:3], 0 offen
	s_waitcnt lgkmcnt(0)
	s_barrier
	ds_write2_b32 v166, v102, v103 offset1:32
	ds_write2_b32 v166, v104, v105 offset0:64 offset1:96
	s_waitcnt lgkmcnt(0)
	s_barrier
	ds_read_b128 v[98:101], v154
	v_mfma_f32_16x16x32_fp8_bf8 v[106:109], v[152:153], v[136:137], v[106:109]
	v_add_u32_e32 v102, s4, v0
	s_waitcnt lgkmcnt(0)
	v_cvt_pk_f16_f32 v101, v100, v101
	v_mfma_f32_16x16x32_fp8_bf8 v[110:113], v[150:151], v[130:131], v[110:113]
	v_cvt_pk_f16_f32 v100, v98, v99
	v_subrev_u32_e32 v98, 64, v1
	buffer_store_dwordx2 v[100:101], v98, s[0:3], 0 offen
	s_waitcnt lgkmcnt(0)
	s_barrier
	ds_write2_b32 v166, v106, v107 offset1:32
	ds_write2_b32 v166, v108, v109 offset0:64 offset1:96
	s_waitcnt lgkmcnt(0)
	s_barrier
	ds_read_b128 v[98:101], v154
	v_mfma_f32_16x16x32_fp8_bf8 v[110:113], v[152:153], v[132:133], v[110:113]
	v_add_u32_e32 v1, 0xffffff80, v1
	s_waitcnt lgkmcnt(0)
	v_cvt_pk_f16_f32 v101, v100, v101
	v_mfma_f32_16x16x32_fp8_bf8 v[94:97], v[162:163], v[130:131], v[94:97]
	v_cvt_pk_f16_f32 v100, v98, v99
	buffer_store_dwordx2 v[100:101], v1, s[0:3], 0 offen
	s_waitcnt lgkmcnt(0)
	s_barrier
	ds_write2_b32 v166, v110, v111 offset1:32
	ds_write2_b32 v166, v112, v113 offset0:64 offset1:96
	s_waitcnt lgkmcnt(0)
	s_barrier
	ds_read_b128 v[98:101], v154
	v_mfma_f32_16x16x32_fp8_bf8 v[94:97], v[164:165], v[132:133], v[94:97]
	s_waitcnt lgkmcnt(0)
	v_cvt_pk_f16_f32 v1, v100, v101
	v_mfma_f32_16x16x32_fp8_bf8 v[90:93], v[162:163], v[134:135], v[90:93]
	v_cvt_pk_f16_f32 v0, v98, v99
	v_lshlrev_b32_e32 v98, 1, v102
	buffer_store_dwordx2 v[0:1], v98, s[0:3], 0 offen
	s_waitcnt lgkmcnt(0)
	s_barrier
	ds_write2_b32 v166, v94, v95 offset1:32
	ds_write2_b32 v166, v96, v97 offset0:64 offset1:96
	s_waitcnt lgkmcnt(0)
	s_barrier
	ds_read_b128 v[94:97], v154
	v_mfma_f32_16x16x32_fp8_bf8 v[90:93], v[164:165], v[136:137], v[90:93]
	v_add_u32_e32 v98, s4, v102
	s_waitcnt lgkmcnt(0)
	v_cvt_pk_f16_f32 v1, v96, v97
	v_mfma_f32_16x16x32_fp8_bf8 v[86:89], v[162:163], v[122:123], v[86:89]
	v_cvt_pk_f16_f32 v0, v94, v95
	v_lshlrev_b32_e32 v94, 1, v98
	buffer_store_dwordx2 v[0:1], v94, s[0:3], 0 offen
	s_waitcnt lgkmcnt(0)
	s_barrier
	ds_write2_b32 v166, v90, v91 offset1:32
	ds_write2_b32 v166, v92, v93 offset0:64 offset1:96
	s_waitcnt lgkmcnt(0)
	s_barrier
	ds_read_b128 v[90:93], v154
	v_mfma_f32_16x16x32_fp8_bf8 v[86:89], v[164:165], v[124:125], v[86:89]
	s_waitcnt lgkmcnt(0)
	v_cvt_pk_f16_f32 v1, v92, v93
	v_mfma_f32_16x16x32_fp8_bf8 v[82:85], v[162:163], v[126:127], v[82:85]
	v_cvt_pk_f16_f32 v0, v90, v91
	buffer_store_dwordx2 v[0:1], v94, s[0:3], 0 offen offset:64
	s_waitcnt lgkmcnt(0)
	s_barrier
	s_nop 0
	ds_write2_b32 v166, v86, v87 offset1:32
	ds_write2_b32 v166, v88, v89 offset0:64 offset1:96
	s_waitcnt lgkmcnt(0)
	s_barrier
	ds_read_b128 v[86:89], v154
	v_mfma_f32_16x16x32_fp8_bf8 v[82:85], v[164:165], v[128:129], v[82:85]
	s_waitcnt lgkmcnt(0)
	v_cvt_pk_f16_f32 v1, v88, v89
	v_mfma_f32_16x16x32_fp8_bf8 v[66:69], v[172:173], v[126:127], v[66:69]
	v_cvt_pk_f16_f32 v0, v86, v87
	buffer_store_dwordx2 v[0:1], v94, s[0:3], 0 offen offset:128
	s_waitcnt lgkmcnt(0)
	s_barrier
	s_nop 0
	ds_write2_b32 v166, v82, v83 offset1:32
	ds_write2_b32 v166, v84, v85 offset0:64 offset1:96
	s_waitcnt lgkmcnt(0)
	s_barrier
	ds_read_b128 v[82:85], v154
	v_mfma_f32_16x16x32_fp8_bf8 v[66:69], v[174:175], v[128:129], v[66:69]
	v_add_u32_e32 v86, 0x60, v98
	s_waitcnt lgkmcnt(0)
	v_cvt_pk_f16_f32 v1, v84, v85
	v_mfma_f32_16x16x32_fp8_bf8 v[70:73], v[172:173], v[122:123], v[70:73]
	v_cvt_pk_f16_f32 v0, v82, v83
	v_lshlrev_b32_e32 v82, 1, v86
	buffer_store_dwordx2 v[0:1], v82, s[0:3], 0 offen
	s_waitcnt lgkmcnt(0)
	s_barrier
	ds_write2_b32 v166, v66, v67 offset1:32
	ds_write2_b32 v166, v68, v69 offset0:64 offset1:96
	s_waitcnt lgkmcnt(0)
	s_barrier
	ds_read_b128 v[66:69], v154
	v_mfma_f32_16x16x32_fp8_bf8 v[70:73], v[174:175], v[124:125], v[70:73]
	v_add_lshl_u32 v82, v86, s4, 1
	s_waitcnt lgkmcnt(0)
	v_cvt_pk_f16_f32 v1, v68, v69
	v_mfma_f32_16x16x32_fp8_bf8 v[74:77], v[172:173], v[134:135], v[74:77]
	v_cvt_pk_f16_f32 v0, v66, v67
	buffer_store_dwordx2 v[0:1], v82, s[0:3], 0 offen
	s_waitcnt lgkmcnt(0)
	s_barrier
	ds_write2_b32 v166, v70, v71 offset1:32
	ds_write2_b32 v166, v72, v73 offset0:64 offset1:96
	s_waitcnt lgkmcnt(0)
	s_barrier
	ds_read_b128 v[66:69], v154
	v_mfma_f32_16x16x32_fp8_bf8 v[74:77], v[174:175], v[136:137], v[74:77]
	v_add_u32_e32 v70, s4, v98
	s_waitcnt lgkmcnt(0)
	v_cvt_pk_f16_f32 v1, v68, v69
	v_mfma_f32_16x16x32_fp8_bf8 v[78:81], v[172:173], v[130:131], v[78:81]
	v_cvt_pk_f16_f32 v0, v66, v67
	v_subrev_u32_e32 v66, 64, v82
	buffer_store_dwordx2 v[0:1], v66, s[0:3], 0 offen
	s_waitcnt lgkmcnt(0)
	s_barrier
	ds_write2_b32 v166, v74, v75 offset1:32
	ds_write2_b32 v166, v76, v77 offset0:64 offset1:96
	s_waitcnt lgkmcnt(0)
	s_barrier
	ds_read_b128 v[66:69], v154
	v_mfma_f32_16x16x32_fp8_bf8 v[78:81], v[174:175], v[132:133], v[78:81]
	s_waitcnt lgkmcnt(0)
	v_cvt_pk_f16_f32 v1, v68, v69
	v_mfma_f32_16x16x32_fp8_bf8 v[62:65], v[180:181], v[130:131], v[62:65]
	v_cvt_pk_f16_f32 v0, v66, v67
	v_add_u32_e32 v66, 0xffffff80, v82
	buffer_store_dwordx2 v[0:1], v66, s[0:3], 0 offen
	s_waitcnt lgkmcnt(0)
	s_barrier
	ds_write2_b32 v166, v78, v79 offset1:32
	ds_write2_b32 v166, v80, v81 offset0:64 offset1:96
	s_waitcnt lgkmcnt(0)
	s_barrier
	ds_read_b128 v[66:69], v154
	v_mfma_f32_16x16x32_fp8_bf8 v[62:65], v[182:183], v[132:133], v[62:65]
	s_waitcnt lgkmcnt(0)
	v_cvt_pk_f16_f32 v1, v68, v69
	v_mfma_f32_16x16x32_fp8_bf8 v[58:61], v[180:181], v[134:135], v[58:61]
	v_cvt_pk_f16_f32 v0, v66, v67
	v_lshlrev_b32_e32 v66, 1, v70
	buffer_store_dwordx2 v[0:1], v66, s[0:3], 0 offen
	s_waitcnt lgkmcnt(0)
	s_barrier
	ds_write2_b32 v166, v62, v63 offset1:32
	ds_write2_b32 v166, v64, v65 offset0:64 offset1:96
	s_waitcnt lgkmcnt(0)
	s_barrier
	ds_read_b128 v[62:65], v154
	v_mfma_f32_16x16x32_fp8_bf8 v[58:61], v[182:183], v[136:137], v[58:61]
	v_add_u32_e32 v66, s4, v70
	s_waitcnt lgkmcnt(0)
	v_cvt_pk_f16_f32 v1, v64, v65
	v_mfma_f32_16x16x32_fp8_bf8 v[54:57], v[180:181], v[122:123], v[54:57]
	v_cvt_pk_f16_f32 v0, v62, v63
	v_lshlrev_b32_e32 v62, 1, v66
	buffer_store_dwordx2 v[0:1], v62, s[0:3], 0 offen
	s_waitcnt lgkmcnt(0)
	s_barrier
	ds_write2_b32 v166, v58, v59 offset1:32
	ds_write2_b32 v166, v60, v61 offset0:64 offset1:96
	s_waitcnt lgkmcnt(0)
	s_barrier
	ds_read_b128 v[58:61], v154
	v_mfma_f32_16x16x32_fp8_bf8 v[54:57], v[182:183], v[124:125], v[54:57]
	s_waitcnt lgkmcnt(0)
	v_cvt_pk_f16_f32 v1, v60, v61
	v_mfma_f32_16x16x32_fp8_bf8 v[50:53], v[180:181], v[126:127], v[50:53]
	v_cvt_pk_f16_f32 v0, v58, v59
	buffer_store_dwordx2 v[0:1], v62, s[0:3], 0 offen offset:64
	s_waitcnt lgkmcnt(0)
	s_barrier
	s_nop 0
	ds_write2_b32 v166, v54, v55 offset1:32
	ds_write2_b32 v166, v56, v57 offset0:64 offset1:96
	s_waitcnt lgkmcnt(0)
	s_barrier
	ds_read_b128 v[54:57], v154
	v_mfma_f32_16x16x32_fp8_bf8 v[50:53], v[182:183], v[128:129], v[50:53]
	s_waitcnt lgkmcnt(0)
	v_cvt_pk_f16_f32 v1, v56, v57
	v_mfma_f32_16x16x32_fp8_bf8 v[34:37], v[142:143], v[126:127], v[34:37]
	v_cvt_pk_f16_f32 v0, v54, v55
	buffer_store_dwordx2 v[0:1], v62, s[0:3], 0 offen offset:128
	s_waitcnt lgkmcnt(0)
	s_barrier
	s_nop 0
	ds_write2_b32 v166, v50, v51 offset1:32
	ds_write2_b32 v166, v52, v53 offset0:64 offset1:96
	s_waitcnt lgkmcnt(0)
	s_barrier
	ds_read_b128 v[50:53], v154
	v_mfma_f32_16x16x32_fp8_bf8 v[34:37], v[144:145], v[128:129], v[34:37]
	v_add_u32_e32 v54, 0x60, v66
	s_waitcnt lgkmcnt(0)
	v_cvt_pk_f16_f32 v1, v52, v53
	v_mfma_f32_16x16x32_fp8_bf8 v[38:41], v[142:143], v[122:123], v[38:41]
	v_cvt_pk_f16_f32 v0, v50, v51
	v_lshlrev_b32_e32 v50, 1, v54
	buffer_store_dwordx2 v[0:1], v50, s[0:3], 0 offen
	s_waitcnt lgkmcnt(0)
	s_barrier
	ds_write2_b32 v166, v34, v35 offset1:32
	ds_write2_b32 v166, v36, v37 offset0:64 offset1:96
	s_waitcnt lgkmcnt(0)
	s_barrier
	ds_read_b128 v[34:37], v154
	v_mfma_f32_16x16x32_fp8_bf8 v[38:41], v[144:145], v[124:125], v[38:41]
	v_add_lshl_u32 v50, v54, s4, 1
	s_waitcnt lgkmcnt(0)
	v_cvt_pk_f16_f32 v1, v36, v37
	v_mfma_f32_16x16x32_fp8_bf8 v[42:45], v[142:143], v[134:135], v[42:45]
	v_cvt_pk_f16_f32 v0, v34, v35
	buffer_store_dwordx2 v[0:1], v50, s[0:3], 0 offen
	s_waitcnt lgkmcnt(0)
	s_barrier
	ds_write2_b32 v166, v38, v39 offset1:32
	ds_write2_b32 v166, v40, v41 offset0:64 offset1:96
	s_waitcnt lgkmcnt(0)
	s_barrier
	ds_read_b128 v[34:37], v154
	v_mfma_f32_16x16x32_fp8_bf8 v[42:45], v[144:145], v[136:137], v[42:45]
	v_add_u32_e32 v38, s4, v66
	v_mfma_f32_16x16x32_fp8_bf8 v[46:49], v[142:143], v[130:131], v[46:49]
	v_mfma_f32_16x16x32_fp8_bf8 v[0:3], v[138:139], v[126:127], v[2:5]
	s_waitcnt lgkmcnt(0)
	s_nop 1
	v_cvt_pk_f16_f32 v5, v36, v37
	v_cvt_pk_f16_f32 v4, v34, v35
	v_subrev_u32_e32 v34, 64, v50
	buffer_store_dwordx2 v[4:5], v34, s[0:3], 0 offen
	s_waitcnt lgkmcnt(0)
	s_barrier
	ds_write2_b32 v166, v42, v43 offset1:32
	ds_write2_b32 v166, v44, v45 offset0:64 offset1:96
	s_waitcnt lgkmcnt(0)
	s_barrier
	ds_read_b128 v[34:37], v154
	v_mfma_f32_16x16x32_fp8_bf8 v[46:49], v[144:145], v[132:133], v[46:49]
	s_waitcnt lgkmcnt(0)
	v_cvt_pk_f16_f32 v5, v36, v37
	v_mfma_f32_16x16x32_fp8_bf8 v[22:25], v[138:139], v[130:131], v[22:25]
	v_cvt_pk_f16_f32 v4, v34, v35
	v_add_u32_e32 v34, 0xffffff80, v50
	buffer_store_dwordx2 v[4:5], v34, s[0:3], 0 offen
	s_waitcnt lgkmcnt(0)
	s_barrier
	ds_write2_b32 v166, v46, v47 offset1:32
	ds_write2_b32 v166, v48, v49 offset0:64 offset1:96
	s_waitcnt lgkmcnt(0)
	s_barrier
	ds_read_b128 v[34:37], v154
	v_mfma_f32_16x16x32_fp8_bf8 v[22:25], v[140:141], v[132:133], v[22:25]
	s_waitcnt lgkmcnt(0)
	v_cvt_pk_f16_f32 v5, v36, v37
	v_mfma_f32_16x16x32_fp8_bf8 v[14:17], v[138:139], v[134:135], v[14:17]
	v_cvt_pk_f16_f32 v4, v34, v35
	v_lshlrev_b32_e32 v34, 1, v38
	buffer_store_dwordx2 v[4:5], v34, s[0:3], 0 offen
	s_waitcnt lgkmcnt(0)
	s_barrier
	ds_write2_b32 v166, v22, v23 offset1:32
	ds_write2_b32 v166, v24, v25 offset0:64 offset1:96
	s_waitcnt lgkmcnt(0)
	s_barrier
	ds_read_b128 v[22:25], v154
	v_mfma_f32_16x16x32_fp8_bf8 v[14:17], v[140:141], v[136:137], v[14:17]
	v_add_u32_e32 v34, s4, v38
	s_waitcnt lgkmcnt(0)
	v_cvt_pk_f16_f32 v5, v24, v25
	v_mfma_f32_16x16x32_fp8_bf8 v[10:13], v[138:139], v[122:123], v[10:13]
	v_cvt_pk_f16_f32 v4, v22, v23
	v_lshlrev_b32_e32 v22, 1, v34
	buffer_store_dwordx2 v[4:5], v22, s[0:3], 0 offen
	s_waitcnt lgkmcnt(0)
	s_barrier
	ds_write2_b32 v166, v14, v15 offset1:32
	ds_write2_b32 v166, v16, v17 offset0:64 offset1:96
	s_waitcnt lgkmcnt(0)
	s_barrier
	ds_read_b128 v[14:17], v154
	v_mfma_f32_16x16x32_fp8_bf8 v[10:13], v[140:141], v[124:125], v[10:13]
	s_waitcnt lgkmcnt(0)
	v_cvt_pk_f16_f32 v5, v16, v17
	v_cvt_pk_f16_f32 v4, v14, v15
	buffer_store_dwordx2 v[4:5], v22, s[0:3], 0 offen offset:64
	s_waitcnt lgkmcnt(0)
	s_barrier
	s_nop 1
	ds_write2_b32 v166, v10, v11 offset1:32
	ds_write2_b32 v166, v12, v13 offset0:64 offset1:96
	s_waitcnt lgkmcnt(0)
	s_barrier
	ds_read_b128 v[10:13], v154
	v_mfma_f32_16x16x32_fp8_bf8 v[0:3], v[140:141], v[128:129], v[0:3]
	v_mfma_f32_16x16x32_fp8_bf8 v[4:7], v[118:119], v[126:127], v[6:9]
	s_waitcnt lgkmcnt(0)
	s_nop 1
	v_cvt_pk_f16_f32 v9, v12, v13
	v_cvt_pk_f16_f32 v8, v10, v11
	buffer_store_dwordx2 v[8:9], v22, s[0:3], 0 offen offset:128
	s_waitcnt lgkmcnt(0)
	s_barrier
	ds_write2_b32 v166, v0, v1 offset1:32
	ds_write2_b32 v166, v2, v3 offset0:64 offset1:96
	s_waitcnt lgkmcnt(0)
	s_barrier
	ds_read_b128 v[0:3], v154
	v_mfma_f32_16x16x32_fp8_bf8 v[4:7], v[120:121], v[128:129], v[4:7]
	v_add_u32_e32 v8, 0x60, v34
	s_waitcnt lgkmcnt(0)
	v_cvt_pk_f16_f32 v3, v2, v3
	v_mfma_f32_16x16x32_fp8_bf8 v[18:21], v[118:119], v[122:123], v[18:21]
	v_cvt_pk_f16_f32 v2, v0, v1
	v_lshlrev_b32_e32 v0, 1, v8
	buffer_store_dwordx2 v[2:3], v0, s[0:3], 0 offen
	s_waitcnt lgkmcnt(0)
	s_barrier
	ds_write2_b32 v166, v4, v5 offset1:32
	ds_write2_b32 v166, v6, v7 offset0:64 offset1:96
	s_waitcnt lgkmcnt(0)
	s_barrier
	ds_read_b128 v[0:3], v154
	v_mfma_f32_16x16x32_fp8_bf8 v[4:7], v[120:121], v[124:125], v[18:21]
	v_add_lshl_u32 v8, v8, s4, 1
	s_waitcnt lgkmcnt(0)
	v_cvt_pk_f16_f32 v3, v2, v3
	v_mfma_f32_16x16x32_fp8_bf8 v[26:29], v[118:119], v[134:135], v[26:29]
	v_cvt_pk_f16_f32 v2, v0, v1
	buffer_store_dwordx2 v[2:3], v8, s[0:3], 0 offen
	s_waitcnt lgkmcnt(0)
	s_barrier
	ds_write2_b32 v166, v4, v5 offset1:32
	ds_write2_b32 v166, v6, v7 offset0:64 offset1:96
	s_waitcnt lgkmcnt(0)
	s_barrier
	ds_read_b128 v[0:3], v154
	v_mfma_f32_16x16x32_fp8_bf8 v[4:7], v[120:121], v[136:137], v[26:29]
	s_waitcnt lgkmcnt(0)
	v_cvt_pk_f16_f32 v3, v2, v3
	v_mfma_f32_16x16x32_fp8_bf8 v[30:33], v[118:119], v[130:131], v[30:33]
	v_cvt_pk_f16_f32 v2, v0, v1
	v_subrev_u32_e32 v0, 64, v8
	buffer_store_dwordx2 v[2:3], v0, s[0:3], 0 offen
	s_waitcnt lgkmcnt(0)
	s_barrier
	ds_write2_b32 v166, v4, v5 offset1:32
	ds_write2_b32 v166, v6, v7 offset0:64 offset1:96
	s_waitcnt lgkmcnt(0)
	s_barrier
	ds_read_b128 v[0:3], v154
	v_mfma_f32_16x16x32_fp8_bf8 v[4:7], v[120:121], v[132:133], v[30:33]
	s_waitcnt lgkmcnt(0)
	v_cvt_pk_f16_f32 v3, v2, v3
	v_cvt_pk_f16_f32 v2, v0, v1
	v_add_u32_e32 v0, 0xffffff80, v8
	buffer_store_dwordx2 v[2:3], v0, s[0:3], 0 offen
	s_waitcnt lgkmcnt(0)
	s_barrier
	s_nop 0
	ds_write2_b32 v166, v4, v5 offset1:32
	ds_write2_b32 v166, v6, v7 offset0:64 offset1:96
	s_waitcnt lgkmcnt(0)
	s_barrier
	ds_read_b128 v[0:3], v154
	s_waitcnt lgkmcnt(0)
	v_cvt_pk_f16_f32 v3, v2, v3
	v_cvt_pk_f16_f32 v2, v0, v1
	v_add_lshl_u32 v0, v34, s4, 1
	buffer_store_dwordx2 v[2:3], v0, s[0:3], 0 offen
	s_endpgm
	.section	.rodata,"a",@progbits
	.p2align	6, 0x0
	.amdhsa_kernel _ZN2ck27kernel_gemm_xdl_cshuffle_v1INS_43GridwiseGemm_k0mk1_k0nk1_mn_xdl_cshuffle_v1INS_13tensor_layout4gemm8RowMajorENS3_11ColumnMajorES4_NS_9f8_fnuz_tENS_10bf8_fnuz_tEffDF16_NS_16tensor_operation12element_wise11PassThroughESA_SA_LNS8_6device18GemmSpecializationE0ELNS_25InMemoryDataOperationEnumE0ELi1ELi256ELi256ELi128ELi64ELi16ELi16ELi16ELi16ELi8ELi4ENS_8SequenceIJLi4ELi64ELi1EEEENSE_IJLi1ELi0ELi2EEEESG_Li2ELi16ELi16ELb0ELi1ESF_SG_SG_Li2ELi8ELi8ELb0ELi1ELi1ELi1ENSE_IJLi1ELi32ELi1ELi8EEEELi4ELNS_13LoopSchedulerE0ELNS_15PipelineVersionE0ES6_S7_EELb1EEEvNT_8ArgumentE
		.amdhsa_group_segment_fixed_size 24672
		.amdhsa_private_segment_fixed_size 0
		.amdhsa_kernarg_size 96
		.amdhsa_user_sgpr_count 2
		.amdhsa_user_sgpr_dispatch_ptr 0
		.amdhsa_user_sgpr_queue_ptr 0
		.amdhsa_user_sgpr_kernarg_segment_ptr 1
		.amdhsa_user_sgpr_dispatch_id 0
		.amdhsa_user_sgpr_kernarg_preload_length 0
		.amdhsa_user_sgpr_kernarg_preload_offset 0
		.amdhsa_user_sgpr_private_segment_size 0
		.amdhsa_uses_dynamic_stack 0
		.amdhsa_enable_private_segment 0
		.amdhsa_system_sgpr_workgroup_id_x 1
		.amdhsa_system_sgpr_workgroup_id_y 0
		.amdhsa_system_sgpr_workgroup_id_z 0
		.amdhsa_system_sgpr_workgroup_info 0
		.amdhsa_system_vgpr_workitem_id 0
		.amdhsa_next_free_vgpr 210
		.amdhsa_next_free_sgpr 91
		.amdhsa_accum_offset 212
		.amdhsa_reserve_vcc 0
		.amdhsa_float_round_mode_32 0
		.amdhsa_float_round_mode_16_64 0
		.amdhsa_float_denorm_mode_32 3
		.amdhsa_float_denorm_mode_16_64 3
		.amdhsa_dx10_clamp 1
		.amdhsa_ieee_mode 1
		.amdhsa_fp16_overflow 0
		.amdhsa_tg_split 0
		.amdhsa_exception_fp_ieee_invalid_op 0
		.amdhsa_exception_fp_denorm_src 0
		.amdhsa_exception_fp_ieee_div_zero 0
		.amdhsa_exception_fp_ieee_overflow 0
		.amdhsa_exception_fp_ieee_underflow 0
		.amdhsa_exception_fp_ieee_inexact 0
		.amdhsa_exception_int_div_zero 0
	.end_amdhsa_kernel
	.section	.text._ZN2ck27kernel_gemm_xdl_cshuffle_v1INS_43GridwiseGemm_k0mk1_k0nk1_mn_xdl_cshuffle_v1INS_13tensor_layout4gemm8RowMajorENS3_11ColumnMajorES4_NS_9f8_fnuz_tENS_10bf8_fnuz_tEffDF16_NS_16tensor_operation12element_wise11PassThroughESA_SA_LNS8_6device18GemmSpecializationE0ELNS_25InMemoryDataOperationEnumE0ELi1ELi256ELi256ELi128ELi64ELi16ELi16ELi16ELi16ELi8ELi4ENS_8SequenceIJLi4ELi64ELi1EEEENSE_IJLi1ELi0ELi2EEEESG_Li2ELi16ELi16ELb0ELi1ESF_SG_SG_Li2ELi8ELi8ELb0ELi1ELi1ELi1ENSE_IJLi1ELi32ELi1ELi8EEEELi4ELNS_13LoopSchedulerE0ELNS_15PipelineVersionE0ES6_S7_EELb1EEEvNT_8ArgumentE,"axG",@progbits,_ZN2ck27kernel_gemm_xdl_cshuffle_v1INS_43GridwiseGemm_k0mk1_k0nk1_mn_xdl_cshuffle_v1INS_13tensor_layout4gemm8RowMajorENS3_11ColumnMajorES4_NS_9f8_fnuz_tENS_10bf8_fnuz_tEffDF16_NS_16tensor_operation12element_wise11PassThroughESA_SA_LNS8_6device18GemmSpecializationE0ELNS_25InMemoryDataOperationEnumE0ELi1ELi256ELi256ELi128ELi64ELi16ELi16ELi16ELi16ELi8ELi4ENS_8SequenceIJLi4ELi64ELi1EEEENSE_IJLi1ELi0ELi2EEEESG_Li2ELi16ELi16ELb0ELi1ESF_SG_SG_Li2ELi8ELi8ELb0ELi1ELi1ELi1ENSE_IJLi1ELi32ELi1ELi8EEEELi4ELNS_13LoopSchedulerE0ELNS_15PipelineVersionE0ES6_S7_EELb1EEEvNT_8ArgumentE,comdat
.Lfunc_end1:
	.size	_ZN2ck27kernel_gemm_xdl_cshuffle_v1INS_43GridwiseGemm_k0mk1_k0nk1_mn_xdl_cshuffle_v1INS_13tensor_layout4gemm8RowMajorENS3_11ColumnMajorES4_NS_9f8_fnuz_tENS_10bf8_fnuz_tEffDF16_NS_16tensor_operation12element_wise11PassThroughESA_SA_LNS8_6device18GemmSpecializationE0ELNS_25InMemoryDataOperationEnumE0ELi1ELi256ELi256ELi128ELi64ELi16ELi16ELi16ELi16ELi8ELi4ENS_8SequenceIJLi4ELi64ELi1EEEENSE_IJLi1ELi0ELi2EEEESG_Li2ELi16ELi16ELb0ELi1ESF_SG_SG_Li2ELi8ELi8ELb0ELi1ELi1ELi1ENSE_IJLi1ELi32ELi1ELi8EEEELi4ELNS_13LoopSchedulerE0ELNS_15PipelineVersionE0ES6_S7_EELb1EEEvNT_8ArgumentE, .Lfunc_end1-_ZN2ck27kernel_gemm_xdl_cshuffle_v1INS_43GridwiseGemm_k0mk1_k0nk1_mn_xdl_cshuffle_v1INS_13tensor_layout4gemm8RowMajorENS3_11ColumnMajorES4_NS_9f8_fnuz_tENS_10bf8_fnuz_tEffDF16_NS_16tensor_operation12element_wise11PassThroughESA_SA_LNS8_6device18GemmSpecializationE0ELNS_25InMemoryDataOperationEnumE0ELi1ELi256ELi256ELi128ELi64ELi16ELi16ELi16ELi16ELi8ELi4ENS_8SequenceIJLi4ELi64ELi1EEEENSE_IJLi1ELi0ELi2EEEESG_Li2ELi16ELi16ELb0ELi1ESF_SG_SG_Li2ELi8ELi8ELb0ELi1ELi1ELi1ENSE_IJLi1ELi32ELi1ELi8EEEELi4ELNS_13LoopSchedulerE0ELNS_15PipelineVersionE0ES6_S7_EELb1EEEvNT_8ArgumentE
                                        ; -- End function
	.set _ZN2ck27kernel_gemm_xdl_cshuffle_v1INS_43GridwiseGemm_k0mk1_k0nk1_mn_xdl_cshuffle_v1INS_13tensor_layout4gemm8RowMajorENS3_11ColumnMajorES4_NS_9f8_fnuz_tENS_10bf8_fnuz_tEffDF16_NS_16tensor_operation12element_wise11PassThroughESA_SA_LNS8_6device18GemmSpecializationE0ELNS_25InMemoryDataOperationEnumE0ELi1ELi256ELi256ELi128ELi64ELi16ELi16ELi16ELi16ELi8ELi4ENS_8SequenceIJLi4ELi64ELi1EEEENSE_IJLi1ELi0ELi2EEEESG_Li2ELi16ELi16ELb0ELi1ESF_SG_SG_Li2ELi8ELi8ELb0ELi1ELi1ELi1ENSE_IJLi1ELi32ELi1ELi8EEEELi4ELNS_13LoopSchedulerE0ELNS_15PipelineVersionE0ES6_S7_EELb1EEEvNT_8ArgumentE.num_vgpr, 210
	.set _ZN2ck27kernel_gemm_xdl_cshuffle_v1INS_43GridwiseGemm_k0mk1_k0nk1_mn_xdl_cshuffle_v1INS_13tensor_layout4gemm8RowMajorENS3_11ColumnMajorES4_NS_9f8_fnuz_tENS_10bf8_fnuz_tEffDF16_NS_16tensor_operation12element_wise11PassThroughESA_SA_LNS8_6device18GemmSpecializationE0ELNS_25InMemoryDataOperationEnumE0ELi1ELi256ELi256ELi128ELi64ELi16ELi16ELi16ELi16ELi8ELi4ENS_8SequenceIJLi4ELi64ELi1EEEENSE_IJLi1ELi0ELi2EEEESG_Li2ELi16ELi16ELb0ELi1ESF_SG_SG_Li2ELi8ELi8ELb0ELi1ELi1ELi1ENSE_IJLi1ELi32ELi1ELi8EEEELi4ELNS_13LoopSchedulerE0ELNS_15PipelineVersionE0ES6_S7_EELb1EEEvNT_8ArgumentE.num_agpr, 0
	.set _ZN2ck27kernel_gemm_xdl_cshuffle_v1INS_43GridwiseGemm_k0mk1_k0nk1_mn_xdl_cshuffle_v1INS_13tensor_layout4gemm8RowMajorENS3_11ColumnMajorES4_NS_9f8_fnuz_tENS_10bf8_fnuz_tEffDF16_NS_16tensor_operation12element_wise11PassThroughESA_SA_LNS8_6device18GemmSpecializationE0ELNS_25InMemoryDataOperationEnumE0ELi1ELi256ELi256ELi128ELi64ELi16ELi16ELi16ELi16ELi8ELi4ENS_8SequenceIJLi4ELi64ELi1EEEENSE_IJLi1ELi0ELi2EEEESG_Li2ELi16ELi16ELb0ELi1ESF_SG_SG_Li2ELi8ELi8ELb0ELi1ELi1ELi1ENSE_IJLi1ELi32ELi1ELi8EEEELi4ELNS_13LoopSchedulerE0ELNS_15PipelineVersionE0ES6_S7_EELb1EEEvNT_8ArgumentE.numbered_sgpr, 29
	.set _ZN2ck27kernel_gemm_xdl_cshuffle_v1INS_43GridwiseGemm_k0mk1_k0nk1_mn_xdl_cshuffle_v1INS_13tensor_layout4gemm8RowMajorENS3_11ColumnMajorES4_NS_9f8_fnuz_tENS_10bf8_fnuz_tEffDF16_NS_16tensor_operation12element_wise11PassThroughESA_SA_LNS8_6device18GemmSpecializationE0ELNS_25InMemoryDataOperationEnumE0ELi1ELi256ELi256ELi128ELi64ELi16ELi16ELi16ELi16ELi8ELi4ENS_8SequenceIJLi4ELi64ELi1EEEENSE_IJLi1ELi0ELi2EEEESG_Li2ELi16ELi16ELb0ELi1ESF_SG_SG_Li2ELi8ELi8ELb0ELi1ELi1ELi1ENSE_IJLi1ELi32ELi1ELi8EEEELi4ELNS_13LoopSchedulerE0ELNS_15PipelineVersionE0ES6_S7_EELb1EEEvNT_8ArgumentE.num_named_barrier, 0
	.set _ZN2ck27kernel_gemm_xdl_cshuffle_v1INS_43GridwiseGemm_k0mk1_k0nk1_mn_xdl_cshuffle_v1INS_13tensor_layout4gemm8RowMajorENS3_11ColumnMajorES4_NS_9f8_fnuz_tENS_10bf8_fnuz_tEffDF16_NS_16tensor_operation12element_wise11PassThroughESA_SA_LNS8_6device18GemmSpecializationE0ELNS_25InMemoryDataOperationEnumE0ELi1ELi256ELi256ELi128ELi64ELi16ELi16ELi16ELi16ELi8ELi4ENS_8SequenceIJLi4ELi64ELi1EEEENSE_IJLi1ELi0ELi2EEEESG_Li2ELi16ELi16ELb0ELi1ESF_SG_SG_Li2ELi8ELi8ELb0ELi1ELi1ELi1ENSE_IJLi1ELi32ELi1ELi8EEEELi4ELNS_13LoopSchedulerE0ELNS_15PipelineVersionE0ES6_S7_EELb1EEEvNT_8ArgumentE.private_seg_size, 0
	.set _ZN2ck27kernel_gemm_xdl_cshuffle_v1INS_43GridwiseGemm_k0mk1_k0nk1_mn_xdl_cshuffle_v1INS_13tensor_layout4gemm8RowMajorENS3_11ColumnMajorES4_NS_9f8_fnuz_tENS_10bf8_fnuz_tEffDF16_NS_16tensor_operation12element_wise11PassThroughESA_SA_LNS8_6device18GemmSpecializationE0ELNS_25InMemoryDataOperationEnumE0ELi1ELi256ELi256ELi128ELi64ELi16ELi16ELi16ELi16ELi8ELi4ENS_8SequenceIJLi4ELi64ELi1EEEENSE_IJLi1ELi0ELi2EEEESG_Li2ELi16ELi16ELb0ELi1ESF_SG_SG_Li2ELi8ELi8ELb0ELi1ELi1ELi1ENSE_IJLi1ELi32ELi1ELi8EEEELi4ELNS_13LoopSchedulerE0ELNS_15PipelineVersionE0ES6_S7_EELb1EEEvNT_8ArgumentE.uses_vcc, 0
	.set _ZN2ck27kernel_gemm_xdl_cshuffle_v1INS_43GridwiseGemm_k0mk1_k0nk1_mn_xdl_cshuffle_v1INS_13tensor_layout4gemm8RowMajorENS3_11ColumnMajorES4_NS_9f8_fnuz_tENS_10bf8_fnuz_tEffDF16_NS_16tensor_operation12element_wise11PassThroughESA_SA_LNS8_6device18GemmSpecializationE0ELNS_25InMemoryDataOperationEnumE0ELi1ELi256ELi256ELi128ELi64ELi16ELi16ELi16ELi16ELi8ELi4ENS_8SequenceIJLi4ELi64ELi1EEEENSE_IJLi1ELi0ELi2EEEESG_Li2ELi16ELi16ELb0ELi1ESF_SG_SG_Li2ELi8ELi8ELb0ELi1ELi1ELi1ENSE_IJLi1ELi32ELi1ELi8EEEELi4ELNS_13LoopSchedulerE0ELNS_15PipelineVersionE0ES6_S7_EELb1EEEvNT_8ArgumentE.uses_flat_scratch, 0
	.set _ZN2ck27kernel_gemm_xdl_cshuffle_v1INS_43GridwiseGemm_k0mk1_k0nk1_mn_xdl_cshuffle_v1INS_13tensor_layout4gemm8RowMajorENS3_11ColumnMajorES4_NS_9f8_fnuz_tENS_10bf8_fnuz_tEffDF16_NS_16tensor_operation12element_wise11PassThroughESA_SA_LNS8_6device18GemmSpecializationE0ELNS_25InMemoryDataOperationEnumE0ELi1ELi256ELi256ELi128ELi64ELi16ELi16ELi16ELi16ELi8ELi4ENS_8SequenceIJLi4ELi64ELi1EEEENSE_IJLi1ELi0ELi2EEEESG_Li2ELi16ELi16ELb0ELi1ESF_SG_SG_Li2ELi8ELi8ELb0ELi1ELi1ELi1ENSE_IJLi1ELi32ELi1ELi8EEEELi4ELNS_13LoopSchedulerE0ELNS_15PipelineVersionE0ES6_S7_EELb1EEEvNT_8ArgumentE.has_dyn_sized_stack, 0
	.set _ZN2ck27kernel_gemm_xdl_cshuffle_v1INS_43GridwiseGemm_k0mk1_k0nk1_mn_xdl_cshuffle_v1INS_13tensor_layout4gemm8RowMajorENS3_11ColumnMajorES4_NS_9f8_fnuz_tENS_10bf8_fnuz_tEffDF16_NS_16tensor_operation12element_wise11PassThroughESA_SA_LNS8_6device18GemmSpecializationE0ELNS_25InMemoryDataOperationEnumE0ELi1ELi256ELi256ELi128ELi64ELi16ELi16ELi16ELi16ELi8ELi4ENS_8SequenceIJLi4ELi64ELi1EEEENSE_IJLi1ELi0ELi2EEEESG_Li2ELi16ELi16ELb0ELi1ESF_SG_SG_Li2ELi8ELi8ELb0ELi1ELi1ELi1ENSE_IJLi1ELi32ELi1ELi8EEEELi4ELNS_13LoopSchedulerE0ELNS_15PipelineVersionE0ES6_S7_EELb1EEEvNT_8ArgumentE.has_recursion, 0
	.set _ZN2ck27kernel_gemm_xdl_cshuffle_v1INS_43GridwiseGemm_k0mk1_k0nk1_mn_xdl_cshuffle_v1INS_13tensor_layout4gemm8RowMajorENS3_11ColumnMajorES4_NS_9f8_fnuz_tENS_10bf8_fnuz_tEffDF16_NS_16tensor_operation12element_wise11PassThroughESA_SA_LNS8_6device18GemmSpecializationE0ELNS_25InMemoryDataOperationEnumE0ELi1ELi256ELi256ELi128ELi64ELi16ELi16ELi16ELi16ELi8ELi4ENS_8SequenceIJLi4ELi64ELi1EEEENSE_IJLi1ELi0ELi2EEEESG_Li2ELi16ELi16ELb0ELi1ESF_SG_SG_Li2ELi8ELi8ELb0ELi1ELi1ELi1ENSE_IJLi1ELi32ELi1ELi8EEEELi4ELNS_13LoopSchedulerE0ELNS_15PipelineVersionE0ES6_S7_EELb1EEEvNT_8ArgumentE.has_indirect_call, 0
	.section	.AMDGPU.csdata,"",@progbits
; Kernel info:
; codeLenInByte = 5720
; TotalNumSgprs: 35
; NumVgprs: 210
; NumAgprs: 0
; TotalNumVgprs: 210
; ScratchSize: 0
; MemoryBound: 0
; FloatMode: 240
; IeeeMode: 1
; LDSByteSize: 24672 bytes/workgroup (compile time only)
; SGPRBlocks: 12
; VGPRBlocks: 26
; NumSGPRsForWavesPerEU: 97
; NumVGPRsForWavesPerEU: 210
; AccumOffset: 212
; Occupancy: 2
; WaveLimiterHint : 0
; COMPUTE_PGM_RSRC2:SCRATCH_EN: 0
; COMPUTE_PGM_RSRC2:USER_SGPR: 2
; COMPUTE_PGM_RSRC2:TRAP_HANDLER: 0
; COMPUTE_PGM_RSRC2:TGID_X_EN: 1
; COMPUTE_PGM_RSRC2:TGID_Y_EN: 0
; COMPUTE_PGM_RSRC2:TGID_Z_EN: 0
; COMPUTE_PGM_RSRC2:TIDIG_COMP_CNT: 0
; COMPUTE_PGM_RSRC3_GFX90A:ACCUM_OFFSET: 52
; COMPUTE_PGM_RSRC3_GFX90A:TG_SPLIT: 0
	.section	.text._ZN2ck27kernel_gemm_xdl_cshuffle_v1INS_43GridwiseGemm_k0mk1_k0nk1_mn_xdl_cshuffle_v1INS_13tensor_layout4gemm8RowMajorENS3_11ColumnMajorES4_NS_9f8_fnuz_tENS_10bf8_fnuz_tEffDF16_NS_16tensor_operation12element_wise11PassThroughESA_SA_LNS8_6device18GemmSpecializationE0ELNS_25InMemoryDataOperationEnumE0ELi1ELi256ELi256ELi128ELi64ELi16ELi16ELi16ELi16ELi8ELi4ENS_8SequenceIJLi4ELi64ELi1EEEENSE_IJLi1ELi0ELi2EEEESG_Li2ELi16ELi16ELb0ELi1ESF_SG_SG_Li2ELi8ELi8ELb0ELi1ELi1ELi1ENSE_IJLi1ELi32ELi1ELi8EEEELi4ELNS_13LoopSchedulerE0ELNS_15PipelineVersionE0ES6_S7_EELb0EEEvNT_8ArgumentE,"axG",@progbits,_ZN2ck27kernel_gemm_xdl_cshuffle_v1INS_43GridwiseGemm_k0mk1_k0nk1_mn_xdl_cshuffle_v1INS_13tensor_layout4gemm8RowMajorENS3_11ColumnMajorES4_NS_9f8_fnuz_tENS_10bf8_fnuz_tEffDF16_NS_16tensor_operation12element_wise11PassThroughESA_SA_LNS8_6device18GemmSpecializationE0ELNS_25InMemoryDataOperationEnumE0ELi1ELi256ELi256ELi128ELi64ELi16ELi16ELi16ELi16ELi8ELi4ENS_8SequenceIJLi4ELi64ELi1EEEENSE_IJLi1ELi0ELi2EEEESG_Li2ELi16ELi16ELb0ELi1ESF_SG_SG_Li2ELi8ELi8ELb0ELi1ELi1ELi1ENSE_IJLi1ELi32ELi1ELi8EEEELi4ELNS_13LoopSchedulerE0ELNS_15PipelineVersionE0ES6_S7_EELb0EEEvNT_8ArgumentE,comdat
	.protected	_ZN2ck27kernel_gemm_xdl_cshuffle_v1INS_43GridwiseGemm_k0mk1_k0nk1_mn_xdl_cshuffle_v1INS_13tensor_layout4gemm8RowMajorENS3_11ColumnMajorES4_NS_9f8_fnuz_tENS_10bf8_fnuz_tEffDF16_NS_16tensor_operation12element_wise11PassThroughESA_SA_LNS8_6device18GemmSpecializationE0ELNS_25InMemoryDataOperationEnumE0ELi1ELi256ELi256ELi128ELi64ELi16ELi16ELi16ELi16ELi8ELi4ENS_8SequenceIJLi4ELi64ELi1EEEENSE_IJLi1ELi0ELi2EEEESG_Li2ELi16ELi16ELb0ELi1ESF_SG_SG_Li2ELi8ELi8ELb0ELi1ELi1ELi1ENSE_IJLi1ELi32ELi1ELi8EEEELi4ELNS_13LoopSchedulerE0ELNS_15PipelineVersionE0ES6_S7_EELb0EEEvNT_8ArgumentE ; -- Begin function _ZN2ck27kernel_gemm_xdl_cshuffle_v1INS_43GridwiseGemm_k0mk1_k0nk1_mn_xdl_cshuffle_v1INS_13tensor_layout4gemm8RowMajorENS3_11ColumnMajorES4_NS_9f8_fnuz_tENS_10bf8_fnuz_tEffDF16_NS_16tensor_operation12element_wise11PassThroughESA_SA_LNS8_6device18GemmSpecializationE0ELNS_25InMemoryDataOperationEnumE0ELi1ELi256ELi256ELi128ELi64ELi16ELi16ELi16ELi16ELi8ELi4ENS_8SequenceIJLi4ELi64ELi1EEEENSE_IJLi1ELi0ELi2EEEESG_Li2ELi16ELi16ELb0ELi1ESF_SG_SG_Li2ELi8ELi8ELb0ELi1ELi1ELi1ENSE_IJLi1ELi32ELi1ELi8EEEELi4ELNS_13LoopSchedulerE0ELNS_15PipelineVersionE0ES6_S7_EELb0EEEvNT_8ArgumentE
	.globl	_ZN2ck27kernel_gemm_xdl_cshuffle_v1INS_43GridwiseGemm_k0mk1_k0nk1_mn_xdl_cshuffle_v1INS_13tensor_layout4gemm8RowMajorENS3_11ColumnMajorES4_NS_9f8_fnuz_tENS_10bf8_fnuz_tEffDF16_NS_16tensor_operation12element_wise11PassThroughESA_SA_LNS8_6device18GemmSpecializationE0ELNS_25InMemoryDataOperationEnumE0ELi1ELi256ELi256ELi128ELi64ELi16ELi16ELi16ELi16ELi8ELi4ENS_8SequenceIJLi4ELi64ELi1EEEENSE_IJLi1ELi0ELi2EEEESG_Li2ELi16ELi16ELb0ELi1ESF_SG_SG_Li2ELi8ELi8ELb0ELi1ELi1ELi1ENSE_IJLi1ELi32ELi1ELi8EEEELi4ELNS_13LoopSchedulerE0ELNS_15PipelineVersionE0ES6_S7_EELb0EEEvNT_8ArgumentE
	.p2align	8
	.type	_ZN2ck27kernel_gemm_xdl_cshuffle_v1INS_43GridwiseGemm_k0mk1_k0nk1_mn_xdl_cshuffle_v1INS_13tensor_layout4gemm8RowMajorENS3_11ColumnMajorES4_NS_9f8_fnuz_tENS_10bf8_fnuz_tEffDF16_NS_16tensor_operation12element_wise11PassThroughESA_SA_LNS8_6device18GemmSpecializationE0ELNS_25InMemoryDataOperationEnumE0ELi1ELi256ELi256ELi128ELi64ELi16ELi16ELi16ELi16ELi8ELi4ENS_8SequenceIJLi4ELi64ELi1EEEENSE_IJLi1ELi0ELi2EEEESG_Li2ELi16ELi16ELb0ELi1ESF_SG_SG_Li2ELi8ELi8ELb0ELi1ELi1ELi1ENSE_IJLi1ELi32ELi1ELi8EEEELi4ELNS_13LoopSchedulerE0ELNS_15PipelineVersionE0ES6_S7_EELb0EEEvNT_8ArgumentE,@function
_ZN2ck27kernel_gemm_xdl_cshuffle_v1INS_43GridwiseGemm_k0mk1_k0nk1_mn_xdl_cshuffle_v1INS_13tensor_layout4gemm8RowMajorENS3_11ColumnMajorES4_NS_9f8_fnuz_tENS_10bf8_fnuz_tEffDF16_NS_16tensor_operation12element_wise11PassThroughESA_SA_LNS8_6device18GemmSpecializationE0ELNS_25InMemoryDataOperationEnumE0ELi1ELi256ELi256ELi128ELi64ELi16ELi16ELi16ELi16ELi8ELi4ENS_8SequenceIJLi4ELi64ELi1EEEENSE_IJLi1ELi0ELi2EEEESG_Li2ELi16ELi16ELb0ELi1ESF_SG_SG_Li2ELi8ELi8ELb0ELi1ELi1ELi1ENSE_IJLi1ELi32ELi1ELi8EEEELi4ELNS_13LoopSchedulerE0ELNS_15PipelineVersionE0ES6_S7_EELb0EEEvNT_8ArgumentE: ; @_ZN2ck27kernel_gemm_xdl_cshuffle_v1INS_43GridwiseGemm_k0mk1_k0nk1_mn_xdl_cshuffle_v1INS_13tensor_layout4gemm8RowMajorENS3_11ColumnMajorES4_NS_9f8_fnuz_tENS_10bf8_fnuz_tEffDF16_NS_16tensor_operation12element_wise11PassThroughESA_SA_LNS8_6device18GemmSpecializationE0ELNS_25InMemoryDataOperationEnumE0ELi1ELi256ELi256ELi128ELi64ELi16ELi16ELi16ELi16ELi8ELi4ENS_8SequenceIJLi4ELi64ELi1EEEENSE_IJLi1ELi0ELi2EEEESG_Li2ELi16ELi16ELb0ELi1ESF_SG_SG_Li2ELi8ELi8ELb0ELi1ELi1ELi1ENSE_IJLi1ELi32ELi1ELi8EEEELi4ELNS_13LoopSchedulerE0ELNS_15PipelineVersionE0ES6_S7_EELb0EEEvNT_8ArgumentE
; %bb.0:
	s_load_dwordx4 s[4:7], s[0:1], 0x10
	s_load_dwordx2 s[16:17], s[0:1], 0x20
	s_abs_i32 s11, s2
	v_and_b32_e32 v26, 3, v0
	v_lshlrev_b32_e32 v2, 4, v26
	s_waitcnt lgkmcnt(0)
	s_add_i32 s8, s4, 0xff
	s_add_i32 s3, s5, 0x7f
	s_ashr_i32 s9, s8, 31
	s_ashr_i32 s10, s3, 31
	s_lshr_b32 s9, s9, 24
	s_add_i32 s8, s8, s9
	s_lshr_b32 s9, s10, 25
	s_add_i32 s3, s3, s9
	s_ashr_i32 s8, s8, 8
	s_ashr_i32 s3, s3, 7
	s_mul_i32 s9, s3, s8
	s_abs_i32 s9, s9
	v_cvt_f32_u32_e32 v1, s9
	s_ashr_i32 s10, s2, 31
	s_add_i32 s2, s4, -1
	s_sub_i32 s4, 0, s9
	v_rcp_iflag_f32_e32 v1, v1
	s_add_i32 s18, s5, -1
	s_mul_i32 s18, s18, s16
	v_lshrrev_b32_e32 v94, 3, v0
	v_mul_f32_e32 v1, 0x4f7ffffe, v1
	v_cvt_u32_f32_e32 v1, v1
	v_and_b32_e32 v86, 15, v0
	v_and_b32_e32 v87, 16, v94
	v_or_b32_e32 v31, v87, v86
	v_readfirstlane_b32 s12, v1
	s_mul_i32 s4, s4, s12
	s_mul_hi_u32 s4, s12, s4
	s_add_i32 s12, s12, s4
	s_mul_hi_u32 s4, s11, s12
	s_mul_i32 s4, s4, s9
	s_sub_i32 s4, s11, s4
	s_sub_i32 s11, s4, s9
	s_cmp_ge_u32 s4, s9
	s_cselect_b32 s4, s11, s4
	s_sub_i32 s11, s4, s9
	s_cmp_ge_u32 s4, s9
	s_cselect_b32 s4, s11, s4
	s_abs_i32 s9, s3
	v_cvt_f32_u32_e32 v1, s9
	s_sub_i32 s20, 0, s9
	s_xor_b32 s4, s4, s10
	s_sub_i32 s4, s4, s10
	v_rcp_iflag_f32_e32 v1, v1
	s_abs_i32 s19, s4
	s_xor_b32 s10, s4, s3
	s_ashr_i32 s10, s10, 31
	v_mul_f32_e32 v1, 0x4f7ffffe, v1
	v_cvt_u32_f32_e32 v1, v1
	s_load_dwordx4 s[12:15], s[0:1], 0x48
	s_mul_i32 s11, s2, s7
	v_lshlrev_b32_e32 v95, 2, v0
	v_readfirstlane_b32 s21, v1
	s_mul_i32 s20, s20, s21
	s_mul_hi_u32 s20, s21, s20
	s_add_i32 s21, s21, s20
	s_mul_hi_u32 s20, s19, s21
	s_mul_i32 s21, s20, s9
	s_sub_i32 s19, s19, s21
	s_add_i32 s21, s20, 1
	s_sub_i32 s22, s19, s9
	s_cmp_ge_u32 s19, s9
	s_cselect_b32 s20, s21, s20
	s_cselect_b32 s19, s22, s19
	s_add_i32 s21, s20, 1
	s_cmp_ge_u32 s19, s9
	s_cselect_b32 s9, s21, s20
	s_xor_b32 s9, s9, s10
	s_sub_i32 s9, s9, s10
	s_lshr_b32 s10, s8, 29
	s_add_i32 s10, s8, s10
	s_and_b32 s10, s10, -8
	s_sub_i32 s8, s8, s10
	s_cmp_ge_i32 s9, s10
	s_cselect_b32 s8, s8, 8
	s_abs_i32 s19, s8
	v_cvt_f32_u32_e32 v1, s19
	s_mul_i32 s10, s9, s3
	s_sub_i32 s4, s4, s10
	s_ashr_i32 s10, s9, 31
	v_rcp_iflag_f32_e32 v1, v1
	s_lshr_b32 s10, s10, 29
	s_add_i32 s10, s9, s10
	s_and_b32 s10, s10, -8
	v_mul_f32_e32 v1, 0x4f7ffffe, v1
	v_cvt_u32_f32_e32 v1, v1
	s_sub_i32 s9, s9, s10
	s_sub_i32 s20, 0, s19
	s_mul_i32 s3, s9, s3
	v_readfirstlane_b32 s21, v1
	s_mul_i32 s20, s20, s21
	s_add_i32 s4, s3, s4
	s_mul_hi_u32 s20, s21, s20
	s_abs_i32 s9, s4
	s_add_i32 s21, s21, s20
	s_mul_hi_u32 s20, s9, s21
	s_mul_i32 s21, s20, s19
	s_xor_b32 s3, s4, s8
	s_sub_i32 s9, s9, s21
	s_ashr_i32 s3, s3, 31
	s_add_i32 s21, s20, 1
	s_sub_i32 s22, s9, s19
	s_cmp_ge_u32 s9, s19
	s_cselect_b32 s20, s21, s20
	s_cselect_b32 s9, s22, s9
	s_add_i32 s21, s20, 1
	s_cmp_ge_u32 s9, s19
	s_cselect_b32 s9, s21, s20
	s_xor_b32 s9, s9, s3
	s_sub_i32 s3, s9, s3
	s_mul_i32 s8, s3, s8
	s_sub_i32 s4, s4, s8
	s_add_i32 s4, s10, s4
	v_and_b32_e32 v1, 0xfc, v0
	v_lshl_or_b32 v3, s4, 8, v1
	v_mad_u64_u32 v[4:5], s[8:9], v3, s7, v[2:3]
	v_lshrrev_b32_e32 v3, 1, v0
	v_and_b32_e32 v27, 0x7e, v3
	v_lshl_or_b32 v3, s3, 7, v27
	v_mad_u64_u32 v[2:3], s[8:9], v3, s16, v[2:3]
	s_add_u32 s8, 0, 0
	s_addc_u32 s10, s11, s6
	s_waitcnt lgkmcnt(0)
	s_and_b32 s9, s13, 0xffff
	s_mov_b32 s11, 0x20000
	s_mov_b32 s8, s12
	v_add_u32_e32 v3, s7, v4
	buffer_load_dwordx4 v[6:9], v4, s[8:11], 0 offen
	buffer_load_dwordx4 v[10:13], v3, s[8:11], 0 offen
	v_add_u32_e32 v3, s7, v3
	v_add_u32_e32 v4, s7, v3
	s_add_u32 s7, 0, 0
	v_add_u32_e32 v28, s16, v2
	buffer_load_dwordx4 v[14:17], v3, s[8:11], 0 offen
	buffer_load_dwordx4 v[18:21], v4, s[8:11], 0 offen
	s_addc_u32 s10, s18, s6
	s_and_b32 s9, s15, 0xffff
	s_mov_b32 s8, s14
	v_add_u32_e32 v29, 8, v28
	buffer_load_dwordx4 v[22:25], v2, s[8:11], 0 offen
	s_nop 0
	buffer_load_dwordx2 v[2:3], v29, s[8:11], 0 offen
	buffer_load_dwordx2 v[4:5], v28, s[8:11], 0 offen
	s_movk_i32 s7, 0x1010
	v_lshlrev_b32_e32 v1, 4, v1
	v_bfe_u32 v28, v0, 4, 2
	v_mul_u32_u24_e32 v29, 0x810, v26
	v_mad_u32_u24 v1, v26, s7, v1
	v_mul_u32_u24_e32 v30, 0x1010, v28
	v_lshl_add_u32 v26, v27, 4, v29
	v_add_u32_e32 v27, 0x4000, v26
	v_lshl_add_u32 v96, v31, 4, v30
	s_movk_i32 s8, 0x100
	s_movk_i32 s6, 0x810
	s_load_dwordx2 s[0:1], s[0:1], 0x58
	s_mul_i32 s2, s2, s17
	s_add_i32 s2, s5, s2
	s_lshl_b32 s2, s2, 1
	s_waitcnt vmcnt(6)
	ds_write_b128 v1, v[6:9]
	s_waitcnt vmcnt(5)
	ds_write_b128 v1, v[10:13] offset:16
	s_waitcnt vmcnt(4)
	ds_write_b128 v1, v[14:17] offset:32
	s_waitcnt vmcnt(3)
	ds_write_b128 v1, v[18:21] offset:48
	s_waitcnt vmcnt(2)
	ds_write_b128 v26, v[22:25] offset:16432
	s_waitcnt lgkmcnt(0)
	s_and_b32 s1, s1, 0xffff
	s_waitcnt vmcnt(1)
	v_and_b32_e32 v1, 0xff00, v3
	v_and_b32_e32 v3, 0xffff00ff, v3
	;; [unrolled: 1-line block ×3, first 2 shown]
	v_or_b32_e32 v3, v3, v1
	v_or_b32_sdwa v2, v6, v2 dst_sel:DWORD dst_unused:UNUSED_PAD src0_sel:DWORD src1_sel:BYTE_0
	s_waitcnt vmcnt(0)
	ds_write2_b64 v27, v[4:5], v[2:3] offset0:8 offset1:9
	s_waitcnt lgkmcnt(0)
	s_barrier
	ds_read_b128 v[14:17], v96
	v_lshlrev_b32_e32 v1, 4, v86
	v_and_or_b32 v1, v95, s8, v1
	v_mad_u32_u24 v1, v28, s6, v1
	ds_read_b128 v[2:5], v1 offset:16432
	ds_read_b128 v[6:9], v1 offset:16944
	;; [unrolled: 1-line block ×5, first 2 shown]
	s_waitcnt lgkmcnt(4)
	v_mfma_f32_16x16x32_fp8_bf8 v[26:29], v[14:15], v[2:3], 0
	ds_read_b128 v[58:61], v96 offset:1024
	ds_read_b128 v[62:65], v96 offset:1536
	v_lshrrev_b32_e32 v1, 2, v0
	v_and_or_b32 v1, v1, 12, v87
	s_waitcnt lgkmcnt(5)
	v_mfma_f32_16x16x32_fp8_bf8 v[30:33], v[14:15], v[6:7], 0
	v_and_b32_e32 v0, 64, v0
	v_lshlrev_b32_e32 v1, 7, v1
	v_and_b32_e32 v95, 28, v95
	s_waitcnt lgkmcnt(3)
	v_mfma_f32_16x16x32_fp8_bf8 v[34:37], v[14:15], v[10:11], 0
	s_waitcnt lgkmcnt(2)
	v_mfma_f32_16x16x32_fp8_bf8 v[38:41], v[14:15], v[18:19], 0
	v_mfma_f32_16x16x32_fp8_bf8 v[26:29], v[16:17], v[4:5], v[26:29]
	;; [unrolled: 1-line block ×5, first 2 shown]
	s_waitcnt lgkmcnt(1)
	v_mfma_f32_16x16x32_fp8_bf8 v[14:17], v[58:59], v[10:11], 0
	v_mfma_f32_16x16x32_fp8_bf8 v[66:69], v[58:59], v[2:3], 0
	;; [unrolled: 1-line block ×8, first 2 shown]
	s_waitcnt lgkmcnt(0)
	v_mfma_f32_16x16x32_fp8_bf8 v[14:17], v[62:63], v[2:3], 0
	v_mfma_f32_16x16x32_fp8_bf8 v[42:45], v[22:23], v[2:3], 0
	;; [unrolled: 1-line block ×6, first 2 shown]
	s_nop 2
	v_lshlrev_b32_e32 v14, 2, v86
	v_or3_b32 v97, v0, v1, v14
	v_lshlrev_b32_e32 v0, 2, v95
	v_mfma_f32_16x16x32_fp8_bf8 v[42:45], v[24:25], v[4:5], v[42:45]
	v_mfma_f32_16x16x32_fp8_bf8 v[46:49], v[24:25], v[8:9], v[46:49]
	;; [unrolled: 1-line block ×4, first 2 shown]
	ds_read_b128 v[86:89], v96 offset:2048
	ds_read_b128 v[90:93], v96 offset:2560
	;; [unrolled: 1-line block ×4, first 2 shown]
	v_lshl_or_b32 v96, v94, 7, v0
	s_waitcnt lgkmcnt(0)
	s_barrier
	ds_write2_b32 v97, v26, v27 offset1:32
	ds_write2_b32 v97, v28, v29 offset0:64 offset1:96
	s_waitcnt lgkmcnt(0)
	s_barrier
	ds_read_b128 v[26:29], v96
	v_mfma_f32_16x16x32_fp8_bf8 v[82:85], v[62:63], v[6:7], 0
	s_waitcnt lgkmcnt(0)
	v_cvt_pk_f16_f32 v0, v26, v27
	v_lshl_or_b32 v27, s4, 8, v94
	v_lshl_or_b32 v26, s3, 7, v95
	v_mad_u64_u32 v[94:95], s[6:7], v27, s17, v[26:27]
	v_cvt_pk_f16_f32 v1, v28, v29
	s_mov_b32 s3, s11
	v_lshlrev_b32_e32 v95, 1, v94
	buffer_store_dwordx2 v[0:1], v95, s[0:3], 0 offen
	s_waitcnt lgkmcnt(0)
	s_barrier
	ds_write2_b32 v97, v30, v31 offset1:32
	ds_write2_b32 v97, v32, v33 offset0:64 offset1:96
	s_waitcnt lgkmcnt(0)
	s_barrier
	ds_read_b128 v[26:29], v96
	s_lshl_b32 s4, s17, 5
	v_mfma_f32_16x16x32_fp8_bf8 v[30:33], v[62:63], v[10:11], 0
	s_waitcnt lgkmcnt(0)
	v_cvt_pk_f16_f32 v1, v28, v29
	v_cvt_pk_f16_f32 v0, v26, v27
	buffer_store_dwordx2 v[0:1], v95, s[0:3], 0 offen offset:64
	s_waitcnt lgkmcnt(0)
	s_barrier
	ds_write2_b32 v97, v34, v35 offset1:32
	ds_write2_b32 v97, v36, v37 offset0:64 offset1:96
	s_waitcnt lgkmcnt(0)
	s_barrier
	ds_read_b128 v[26:29], v96
	v_mfma_f32_16x16x32_fp8_bf8 v[34:37], v[62:63], v[18:19], 0
	s_waitcnt lgkmcnt(0)
	v_cvt_pk_f16_f32 v1, v28, v29
	v_cvt_pk_f16_f32 v0, v26, v27
	buffer_store_dwordx2 v[0:1], v95, s[0:3], 0 offen offset:128
	s_waitcnt lgkmcnt(0)
	s_barrier
	ds_write2_b32 v97, v38, v39 offset1:32
	ds_write2_b32 v97, v40, v41 offset0:64 offset1:96
	s_waitcnt lgkmcnt(0)
	s_barrier
	ds_read_b128 v[26:29], v96
	v_add_u32_e32 v38, 0x60, v94
	v_mfma_f32_16x16x32_fp8_bf8 v[34:37], v[64:65], v[20:21], v[34:37]
	s_waitcnt lgkmcnt(0)
	v_cvt_pk_f16_f32 v1, v28, v29
	v_cvt_pk_f16_f32 v0, v26, v27
	v_lshlrev_b32_e32 v26, 1, v38
	buffer_store_dwordx2 v[0:1], v26, s[0:3], 0 offen
	s_waitcnt lgkmcnt(0)
	s_barrier
	ds_write2_b32 v97, v54, v55 offset1:32
	ds_write2_b32 v97, v56, v57 offset0:64 offset1:96
	s_waitcnt lgkmcnt(0)
	s_barrier
	ds_read_b128 v[26:29], v96
	v_add_lshl_u32 v54, v38, s4, 1
	v_mfma_f32_16x16x32_fp8_bf8 v[30:33], v[64:65], v[12:13], v[30:33]
	s_waitcnt lgkmcnt(0)
	v_cvt_pk_f16_f32 v1, v28, v29
	v_cvt_pk_f16_f32 v0, v26, v27
	buffer_store_dwordx2 v[0:1], v54, s[0:3], 0 offen
	s_waitcnt lgkmcnt(0)
	s_barrier
	ds_write2_b32 v97, v50, v51 offset1:32
	ds_write2_b32 v97, v52, v53 offset0:64 offset1:96
	s_waitcnt lgkmcnt(0)
	s_barrier
	ds_read_b128 v[38:41], v96
	v_mfma_f32_16x16x32_fp8_bf8 v[82:85], v[64:65], v[8:9], v[82:85]
	s_waitcnt lgkmcnt(0)
	v_cvt_pk_f16_f32 v1, v40, v41
	v_cvt_pk_f16_f32 v0, v38, v39
	v_subrev_u32_e32 v38, 64, v54
	buffer_store_dwordx2 v[0:1], v38, s[0:3], 0 offen
	s_waitcnt lgkmcnt(0)
	s_barrier
	ds_write2_b32 v97, v46, v47 offset1:32
	ds_write2_b32 v97, v48, v49 offset0:64 offset1:96
	s_waitcnt lgkmcnt(0)
	s_barrier
	ds_read_b128 v[46:49], v96
	v_mfma_f32_16x16x32_fp8_bf8 v[26:29], v[86:87], v[2:3], 0
	s_waitcnt lgkmcnt(0)
	v_cvt_pk_f16_f32 v1, v48, v49
	v_cvt_pk_f16_f32 v0, v46, v47
	v_add_u32_e32 v46, 0xffffff80, v54
	buffer_store_dwordx2 v[0:1], v46, s[0:3], 0 offen
	s_waitcnt lgkmcnt(0)
	s_barrier
	ds_write2_b32 v97, v42, v43 offset1:32
	ds_write2_b32 v97, v44, v45 offset0:64 offset1:96
	s_waitcnt lgkmcnt(0)
	s_barrier
	ds_read_b128 v[42:45], v96
	v_mfma_f32_16x16x32_fp8_bf8 v[46:49], v[86:87], v[10:11], 0
	v_add_u32_e32 v54, s4, v94
	s_waitcnt lgkmcnt(0)
	v_cvt_pk_f16_f32 v1, v44, v45
	v_cvt_pk_f16_f32 v0, v42, v43
	v_mfma_f32_16x16x32_fp8_bf8 v[42:45], v[88:89], v[12:13], v[46:49]
	s_nop 2
	v_lshlrev_b32_e32 v46, 1, v54
	buffer_store_dwordx2 v[0:1], v46, s[0:3], 0 offen
	s_waitcnt lgkmcnt(0)
	s_barrier
	ds_write2_b32 v97, v66, v67 offset1:32
	ds_write2_b32 v97, v68, v69 offset0:64 offset1:96
	s_waitcnt lgkmcnt(0)
	s_barrier
	ds_read_b128 v[46:49], v96
	v_add_u32_e32 v66, s4, v54
	v_lshlrev_b32_e32 v62, 1, v66
	v_mfma_f32_16x16x32_fp8_bf8 v[26:29], v[88:89], v[4:5], v[26:29]
	s_waitcnt lgkmcnt(0)
	v_cvt_pk_f16_f32 v1, v48, v49
	v_cvt_pk_f16_f32 v0, v46, v47
	buffer_store_dwordx2 v[0:1], v62, s[0:3], 0 offen
	s_waitcnt lgkmcnt(0)
	s_barrier
	ds_write2_b32 v97, v70, v71 offset1:32
	ds_write2_b32 v97, v72, v73 offset0:64 offset1:96
	s_waitcnt lgkmcnt(0)
	s_barrier
	ds_read_b128 v[46:49], v96
	v_mfma_f32_16x16x32_fp8_bf8 v[38:41], v[86:87], v[6:7], 0
	s_waitcnt lgkmcnt(0)
	v_cvt_pk_f16_f32 v1, v48, v49
	v_cvt_pk_f16_f32 v0, v46, v47
	buffer_store_dwordx2 v[0:1], v62, s[0:3], 0 offen offset:64
	s_waitcnt lgkmcnt(0)
	s_barrier
	ds_write2_b32 v97, v74, v75 offset1:32
	ds_write2_b32 v97, v76, v77 offset0:64 offset1:96
	s_waitcnt lgkmcnt(0)
	s_barrier
	ds_read_b128 v[54:57], v96
	v_mfma_f32_16x16x32_fp8_bf8 v[38:41], v[88:89], v[8:9], v[38:41]
	s_waitcnt lgkmcnt(0)
	v_cvt_pk_f16_f32 v1, v56, v57
	v_cvt_pk_f16_f32 v0, v54, v55
	buffer_store_dwordx2 v[0:1], v62, s[0:3], 0 offen offset:128
	s_waitcnt lgkmcnt(0)
	s_barrier
	ds_write2_b32 v97, v58, v59 offset1:32
	ds_write2_b32 v97, v60, v61 offset0:64 offset1:96
	s_waitcnt lgkmcnt(0)
	s_barrier
	ds_read_b128 v[58:61], v96
	v_add_u32_e32 v62, 0x60, v66
	v_add_u32_e32 v66, s4, v66
	v_mfma_f32_16x16x32_fp8_bf8 v[50:53], v[86:87], v[18:19], 0
	s_waitcnt lgkmcnt(0)
	v_cvt_pk_f16_f32 v1, v60, v61
	v_cvt_pk_f16_f32 v0, v58, v59
	v_lshlrev_b32_e32 v58, 1, v62
	buffer_store_dwordx2 v[0:1], v58, s[0:3], 0 offen
	s_waitcnt lgkmcnt(0)
	s_barrier
	ds_write2_b32 v97, v34, v35 offset1:32
	ds_write2_b32 v97, v36, v37 offset0:64 offset1:96
	s_waitcnt lgkmcnt(0)
	s_barrier
	ds_read_b128 v[34:37], v96
	v_add_lshl_u32 v62, v62, s4, 1
	v_mfma_f32_16x16x32_fp8_bf8 v[58:61], v[90:91], v[10:11], 0
	s_waitcnt lgkmcnt(0)
	v_cvt_pk_f16_f32 v1, v36, v37
	v_cvt_pk_f16_f32 v0, v34, v35
	buffer_store_dwordx2 v[0:1], v62, s[0:3], 0 offen
	s_waitcnt lgkmcnt(0)
	s_barrier
	ds_write2_b32 v97, v30, v31 offset1:32
	ds_write2_b32 v97, v32, v33 offset0:64 offset1:96
	s_waitcnt lgkmcnt(0)
	s_barrier
	ds_read_b128 v[30:33], v96
	v_mfma_f32_16x16x32_fp8_bf8 v[34:37], v[92:93], v[12:13], v[58:61]
	s_waitcnt lgkmcnt(0)
	v_cvt_pk_f16_f32 v1, v32, v33
	v_cvt_pk_f16_f32 v0, v30, v31
	v_subrev_u32_e32 v58, 64, v62
	buffer_store_dwordx2 v[0:1], v58, s[0:3], 0 offen
	s_waitcnt lgkmcnt(0)
	s_barrier
	ds_write2_b32 v97, v82, v83 offset1:32
	ds_write2_b32 v97, v84, v85 offset0:64 offset1:96
	s_waitcnt lgkmcnt(0)
	s_barrier
	ds_read_b128 v[58:61], v96
	v_mfma_f32_16x16x32_fp8_bf8 v[50:53], v[88:89], v[20:21], v[50:53]
	s_waitcnt lgkmcnt(0)
	v_cvt_pk_f16_f32 v1, v60, v61
	v_cvt_pk_f16_f32 v0, v58, v59
	v_add_u32_e32 v58, 0xffffff80, v62
	buffer_store_dwordx2 v[0:1], v58, s[0:3], 0 offen
	s_waitcnt lgkmcnt(0)
	s_barrier
	ds_write2_b32 v97, v78, v79 offset1:32
	ds_write2_b32 v97, v80, v81 offset0:64 offset1:96
	s_waitcnt lgkmcnt(0)
	s_barrier
	ds_read_b128 v[58:61], v96
	v_mfma_f32_16x16x32_fp8_bf8 v[62:65], v[22:23], v[2:3], 0
	s_waitcnt lgkmcnt(0)
	v_cvt_pk_f16_f32 v1, v60, v61
	v_cvt_pk_f16_f32 v0, v58, v59
	v_lshlrev_b32_e32 v58, 1, v66
	buffer_store_dwordx2 v[0:1], v58, s[0:3], 0 offen
	s_waitcnt lgkmcnt(0)
	s_barrier
	ds_write2_b32 v97, v26, v27 offset1:32
	ds_write2_b32 v97, v28, v29 offset0:64 offset1:96
	s_waitcnt lgkmcnt(0)
	s_barrier
	ds_read_b128 v[26:29], v96
	v_mfma_f32_16x16x32_fp8_bf8 v[58:61], v[24:25], v[4:5], v[62:65]
	s_waitcnt lgkmcnt(0)
	v_cvt_pk_f16_f32 v1, v28, v29
	s_nop 0
	v_add_u32_e32 v62, s4, v66
	v_cvt_pk_f16_f32 v0, v26, v27
	v_lshlrev_b32_e32 v63, 1, v62
	buffer_store_dwordx2 v[0:1], v63, s[0:3], 0 offen
	s_waitcnt lgkmcnt(0)
	s_barrier
	ds_write2_b32 v97, v38, v39 offset1:32
	ds_write2_b32 v97, v40, v41 offset0:64 offset1:96
	s_waitcnt lgkmcnt(0)
	s_barrier
	ds_read_b128 v[26:29], v96
	v_mfma_f32_16x16x32_fp8_bf8 v[30:33], v[90:91], v[18:19], 0
	s_waitcnt lgkmcnt(0)
	v_cvt_pk_f16_f32 v1, v28, v29
	v_cvt_pk_f16_f32 v0, v26, v27
	buffer_store_dwordx2 v[0:1], v63, s[0:3], 0 offen offset:64
	s_waitcnt lgkmcnt(0)
	s_barrier
	ds_write2_b32 v97, v42, v43 offset1:32
	ds_write2_b32 v97, v44, v45 offset0:64 offset1:96
	s_waitcnt lgkmcnt(0)
	s_barrier
	ds_read_b128 v[26:29], v96
	v_mfma_f32_16x16x32_fp8_bf8 v[30:33], v[92:93], v[20:21], v[30:33]
	s_waitcnt lgkmcnt(0)
	v_cvt_pk_f16_f32 v1, v28, v29
	v_cvt_pk_f16_f32 v0, v26, v27
	buffer_store_dwordx2 v[0:1], v63, s[0:3], 0 offen offset:128
	s_waitcnt lgkmcnt(0)
	s_barrier
	ds_write2_b32 v97, v50, v51 offset1:32
	ds_write2_b32 v97, v52, v53 offset0:64 offset1:96
	s_waitcnt lgkmcnt(0)
	s_barrier
	ds_read_b128 v[26:29], v96
	v_add_u32_e32 v50, 0x60, v62
	v_mfma_f32_16x16x32_fp8_bf8 v[42:45], v[22:23], v[10:11], 0
	s_waitcnt lgkmcnt(0)
	v_cvt_pk_f16_f32 v1, v28, v29
	v_cvt_pk_f16_f32 v0, v26, v27
	v_lshlrev_b32_e32 v26, 1, v50
	buffer_store_dwordx2 v[0:1], v26, s[0:3], 0 offen
	s_waitcnt lgkmcnt(0)
	s_barrier
	ds_write2_b32 v97, v30, v31 offset1:32
	ds_write2_b32 v97, v32, v33 offset0:64 offset1:96
	s_waitcnt lgkmcnt(0)
	s_barrier
	ds_read_b128 v[26:29], v96
	v_mfma_f32_16x16x32_fp8_bf8 v[54:57], v[90:91], v[6:7], 0
	s_waitcnt lgkmcnt(0)
	v_cvt_pk_f16_f32 v1, v28, v29
	v_mfma_f32_16x16x32_fp8_bf8 v[30:33], v[24:25], v[12:13], v[42:45]
	v_cvt_pk_f16_f32 v0, v26, v27
	s_nop 1
	v_add_lshl_u32 v42, v50, s4, 1
	buffer_store_dwordx2 v[0:1], v42, s[0:3], 0 offen
	s_waitcnt lgkmcnt(0)
	s_barrier
	ds_write2_b32 v97, v34, v35 offset1:32
	ds_write2_b32 v97, v36, v37 offset0:64 offset1:96
	s_waitcnt lgkmcnt(0)
	s_barrier
	ds_read_b128 v[26:29], v96
	v_mfma_f32_16x16x32_fp8_bf8 v[54:57], v[92:93], v[8:9], v[54:57]
	s_waitcnt lgkmcnt(0)
	v_cvt_pk_f16_f32 v1, v28, v29
	v_mfma_f32_16x16x32_fp8_bf8 v[46:49], v[90:91], v[2:3], 0
	v_cvt_pk_f16_f32 v0, v26, v27
	v_mfma_f32_16x16x32_fp8_bf8 v[38:41], v[22:23], v[6:7], 0
	v_mfma_f32_16x16x32_fp8_bf8 v[34:37], v[22:23], v[18:19], 0
	v_subrev_u32_e32 v22, 64, v42
	buffer_store_dwordx2 v[0:1], v22, s[0:3], 0 offen
	s_waitcnt lgkmcnt(0)
	s_barrier
	ds_write2_b32 v97, v54, v55 offset1:32
	ds_write2_b32 v97, v56, v57 offset0:64 offset1:96
	s_waitcnt lgkmcnt(0)
	s_barrier
	ds_read_b128 v[26:29], v96
	v_mfma_f32_16x16x32_fp8_bf8 v[46:49], v[92:93], v[4:5], v[46:49]
	s_waitcnt lgkmcnt(0)
	v_cvt_pk_f16_f32 v1, v28, v29
	v_cvt_pk_f16_f32 v0, v26, v27
	v_add_u32_e32 v26, 0xffffff80, v42
	buffer_store_dwordx2 v[0:1], v26, s[0:3], 0 offen
	s_waitcnt lgkmcnt(0)
	s_barrier
	s_nop 0
	ds_write2_b32 v97, v46, v47 offset1:32
	ds_write2_b32 v97, v48, v49 offset0:64 offset1:96
	s_waitcnt lgkmcnt(0)
	s_barrier
	ds_read_b128 v[26:29], v96
	v_add_u32_e32 v42, s4, v62
	v_mfma_f32_16x16x32_fp8_bf8 v[38:41], v[24:25], v[8:9], v[38:41]
	s_waitcnt lgkmcnt(0)
	v_cvt_pk_f16_f32 v29, v28, v29
	v_cvt_pk_f16_f32 v28, v26, v27
	v_lshlrev_b32_e32 v26, 1, v42
	buffer_store_dwordx2 v[28:29], v26, s[0:3], 0 offen
	s_waitcnt lgkmcnt(0)
	s_barrier
	ds_write2_b32 v97, v58, v59 offset1:32
	ds_write2_b32 v97, v60, v61 offset0:64 offset1:96
	s_waitcnt lgkmcnt(0)
	s_barrier
	ds_read_b128 v[26:29], v96
	v_add_u32_e32 v42, s4, v42
	v_mfma_f32_16x16x32_fp8_bf8 v[22:25], v[24:25], v[20:21], v[34:37]
	v_lshlrev_b32_e32 v43, 1, v42
	v_mfma_f32_16x16x32_fp8_bf8 v[34:37], v[14:15], v[6:7], 0
	s_waitcnt lgkmcnt(0)
	v_cvt_pk_f16_f32 v7, v28, v29
	v_cvt_pk_f16_f32 v6, v26, v27
	buffer_store_dwordx2 v[6:7], v43, s[0:3], 0 offen
	s_waitcnt lgkmcnt(0)
	s_barrier
	ds_write2_b32 v97, v38, v39 offset1:32
	ds_write2_b32 v97, v40, v41 offset0:64 offset1:96
	s_waitcnt lgkmcnt(0)
	s_barrier
	ds_read_b128 v[26:29], v96
	v_mfma_f32_16x16x32_fp8_bf8 v[0:3], v[14:15], v[2:3], 0
	s_waitcnt lgkmcnt(0)
	v_cvt_pk_f16_f32 v7, v28, v29
	v_cvt_pk_f16_f32 v6, v26, v27
	buffer_store_dwordx2 v[6:7], v43, s[0:3], 0 offen offset:64
	s_waitcnt lgkmcnt(0)
	s_barrier
	ds_write2_b32 v97, v30, v31 offset1:32
	ds_write2_b32 v97, v32, v33 offset0:64 offset1:96
	s_waitcnt lgkmcnt(0)
	s_barrier
	ds_read_b128 v[26:29], v96
	v_mfma_f32_16x16x32_fp8_bf8 v[30:33], v[14:15], v[18:19], 0
	s_waitcnt lgkmcnt(0)
	v_cvt_pk_f16_f32 v7, v28, v29
	v_cvt_pk_f16_f32 v6, v26, v27
	buffer_store_dwordx2 v[6:7], v43, s[0:3], 0 offen offset:128
	s_waitcnt lgkmcnt(0)
	s_barrier
	ds_write2_b32 v97, v22, v23 offset1:32
	ds_write2_b32 v97, v24, v25 offset0:64 offset1:96
	s_waitcnt lgkmcnt(0)
	s_barrier
	ds_read_b128 v[22:25], v96
	v_mfma_f32_16x16x32_fp8_bf8 v[18:21], v[16:17], v[20:21], v[30:33]
	s_waitcnt lgkmcnt(0)
	v_cvt_pk_f16_f32 v7, v24, v25
	v_mfma_f32_16x16x32_fp8_bf8 v[38:41], v[14:15], v[10:11], 0
	v_add_u32_e32 v14, 0x60, v42
	v_cvt_pk_f16_f32 v6, v22, v23
	v_lshlrev_b32_e32 v10, 1, v14
	buffer_store_dwordx2 v[6:7], v10, s[0:3], 0 offen
	s_waitcnt lgkmcnt(0)
	s_barrier
	ds_write2_b32 v97, v18, v19 offset1:32
	ds_write2_b32 v97, v20, v21 offset0:64 offset1:96
	s_waitcnt lgkmcnt(0)
	s_barrier
	ds_read_b128 v[18:21], v96
	v_mfma_f32_16x16x32_fp8_bf8 v[10:13], v[16:17], v[12:13], v[38:41]
	v_add_lshl_u32 v14, v14, s4, 1
	s_waitcnt lgkmcnt(0)
	v_cvt_pk_f16_f32 v7, v20, v21
	v_cvt_pk_f16_f32 v6, v18, v19
	buffer_store_dwordx2 v[6:7], v14, s[0:3], 0 offen
	s_waitcnt lgkmcnt(0)
	s_barrier
	s_nop 0
	ds_write2_b32 v97, v10, v11 offset1:32
	ds_write2_b32 v97, v12, v13 offset0:64 offset1:96
	s_waitcnt lgkmcnt(0)
	s_barrier
	ds_read_b128 v[10:13], v96
	v_mfma_f32_16x16x32_fp8_bf8 v[6:9], v[16:17], v[8:9], v[34:37]
	s_waitcnt lgkmcnt(0)
	v_cvt_pk_f16_f32 v13, v12, v13
	v_cvt_pk_f16_f32 v12, v10, v11
	v_subrev_u32_e32 v10, 64, v14
	buffer_store_dwordx2 v[12:13], v10, s[0:3], 0 offen
	s_waitcnt lgkmcnt(0)
	s_barrier
	s_nop 0
	ds_write2_b32 v97, v6, v7 offset1:32
	ds_write2_b32 v97, v8, v9 offset0:64 offset1:96
	s_waitcnt lgkmcnt(0)
	s_barrier
	ds_read_b128 v[6:9], v96
	v_mfma_f32_16x16x32_fp8_bf8 v[0:3], v[16:17], v[4:5], v[0:3]
	s_waitcnt lgkmcnt(0)
	v_cvt_pk_f16_f32 v5, v8, v9
	v_cvt_pk_f16_f32 v4, v6, v7
	v_add_u32_e32 v6, 0xffffff80, v14
	buffer_store_dwordx2 v[4:5], v6, s[0:3], 0 offen
	s_waitcnt lgkmcnt(0)
	s_barrier
	s_nop 0
	ds_write2_b32 v97, v0, v1 offset1:32
	ds_write2_b32 v97, v2, v3 offset0:64 offset1:96
	s_waitcnt lgkmcnt(0)
	s_barrier
	ds_read_b128 v[0:3], v96
	s_waitcnt lgkmcnt(0)
	v_cvt_pk_f16_f32 v3, v2, v3
	v_cvt_pk_f16_f32 v2, v0, v1
	v_add_lshl_u32 v0, v42, s4, 1
	buffer_store_dwordx2 v[2:3], v0, s[0:3], 0 offen
	s_endpgm
	.section	.rodata,"a",@progbits
	.p2align	6, 0x0
	.amdhsa_kernel _ZN2ck27kernel_gemm_xdl_cshuffle_v1INS_43GridwiseGemm_k0mk1_k0nk1_mn_xdl_cshuffle_v1INS_13tensor_layout4gemm8RowMajorENS3_11ColumnMajorES4_NS_9f8_fnuz_tENS_10bf8_fnuz_tEffDF16_NS_16tensor_operation12element_wise11PassThroughESA_SA_LNS8_6device18GemmSpecializationE0ELNS_25InMemoryDataOperationEnumE0ELi1ELi256ELi256ELi128ELi64ELi16ELi16ELi16ELi16ELi8ELi4ENS_8SequenceIJLi4ELi64ELi1EEEENSE_IJLi1ELi0ELi2EEEESG_Li2ELi16ELi16ELb0ELi1ESF_SG_SG_Li2ELi8ELi8ELb0ELi1ELi1ELi1ENSE_IJLi1ELi32ELi1ELi8EEEELi4ELNS_13LoopSchedulerE0ELNS_15PipelineVersionE0ES6_S7_EELb0EEEvNT_8ArgumentE
		.amdhsa_group_segment_fixed_size 24672
		.amdhsa_private_segment_fixed_size 0
		.amdhsa_kernarg_size 96
		.amdhsa_user_sgpr_count 2
		.amdhsa_user_sgpr_dispatch_ptr 0
		.amdhsa_user_sgpr_queue_ptr 0
		.amdhsa_user_sgpr_kernarg_segment_ptr 1
		.amdhsa_user_sgpr_dispatch_id 0
		.amdhsa_user_sgpr_kernarg_preload_length 0
		.amdhsa_user_sgpr_kernarg_preload_offset 0
		.amdhsa_user_sgpr_private_segment_size 0
		.amdhsa_uses_dynamic_stack 0
		.amdhsa_enable_private_segment 0
		.amdhsa_system_sgpr_workgroup_id_x 1
		.amdhsa_system_sgpr_workgroup_id_y 0
		.amdhsa_system_sgpr_workgroup_id_z 0
		.amdhsa_system_sgpr_workgroup_info 0
		.amdhsa_system_vgpr_workitem_id 0
		.amdhsa_next_free_vgpr 98
		.amdhsa_next_free_sgpr 91
		.amdhsa_accum_offset 100
		.amdhsa_reserve_vcc 0
		.amdhsa_float_round_mode_32 0
		.amdhsa_float_round_mode_16_64 0
		.amdhsa_float_denorm_mode_32 3
		.amdhsa_float_denorm_mode_16_64 3
		.amdhsa_dx10_clamp 1
		.amdhsa_ieee_mode 1
		.amdhsa_fp16_overflow 0
		.amdhsa_tg_split 0
		.amdhsa_exception_fp_ieee_invalid_op 0
		.amdhsa_exception_fp_denorm_src 0
		.amdhsa_exception_fp_ieee_div_zero 0
		.amdhsa_exception_fp_ieee_overflow 0
		.amdhsa_exception_fp_ieee_underflow 0
		.amdhsa_exception_fp_ieee_inexact 0
		.amdhsa_exception_int_div_zero 0
	.end_amdhsa_kernel
	.section	.text._ZN2ck27kernel_gemm_xdl_cshuffle_v1INS_43GridwiseGemm_k0mk1_k0nk1_mn_xdl_cshuffle_v1INS_13tensor_layout4gemm8RowMajorENS3_11ColumnMajorES4_NS_9f8_fnuz_tENS_10bf8_fnuz_tEffDF16_NS_16tensor_operation12element_wise11PassThroughESA_SA_LNS8_6device18GemmSpecializationE0ELNS_25InMemoryDataOperationEnumE0ELi1ELi256ELi256ELi128ELi64ELi16ELi16ELi16ELi16ELi8ELi4ENS_8SequenceIJLi4ELi64ELi1EEEENSE_IJLi1ELi0ELi2EEEESG_Li2ELi16ELi16ELb0ELi1ESF_SG_SG_Li2ELi8ELi8ELb0ELi1ELi1ELi1ENSE_IJLi1ELi32ELi1ELi8EEEELi4ELNS_13LoopSchedulerE0ELNS_15PipelineVersionE0ES6_S7_EELb0EEEvNT_8ArgumentE,"axG",@progbits,_ZN2ck27kernel_gemm_xdl_cshuffle_v1INS_43GridwiseGemm_k0mk1_k0nk1_mn_xdl_cshuffle_v1INS_13tensor_layout4gemm8RowMajorENS3_11ColumnMajorES4_NS_9f8_fnuz_tENS_10bf8_fnuz_tEffDF16_NS_16tensor_operation12element_wise11PassThroughESA_SA_LNS8_6device18GemmSpecializationE0ELNS_25InMemoryDataOperationEnumE0ELi1ELi256ELi256ELi128ELi64ELi16ELi16ELi16ELi16ELi8ELi4ENS_8SequenceIJLi4ELi64ELi1EEEENSE_IJLi1ELi0ELi2EEEESG_Li2ELi16ELi16ELb0ELi1ESF_SG_SG_Li2ELi8ELi8ELb0ELi1ELi1ELi1ENSE_IJLi1ELi32ELi1ELi8EEEELi4ELNS_13LoopSchedulerE0ELNS_15PipelineVersionE0ES6_S7_EELb0EEEvNT_8ArgumentE,comdat
.Lfunc_end2:
	.size	_ZN2ck27kernel_gemm_xdl_cshuffle_v1INS_43GridwiseGemm_k0mk1_k0nk1_mn_xdl_cshuffle_v1INS_13tensor_layout4gemm8RowMajorENS3_11ColumnMajorES4_NS_9f8_fnuz_tENS_10bf8_fnuz_tEffDF16_NS_16tensor_operation12element_wise11PassThroughESA_SA_LNS8_6device18GemmSpecializationE0ELNS_25InMemoryDataOperationEnumE0ELi1ELi256ELi256ELi128ELi64ELi16ELi16ELi16ELi16ELi8ELi4ENS_8SequenceIJLi4ELi64ELi1EEEENSE_IJLi1ELi0ELi2EEEESG_Li2ELi16ELi16ELb0ELi1ESF_SG_SG_Li2ELi8ELi8ELb0ELi1ELi1ELi1ENSE_IJLi1ELi32ELi1ELi8EEEELi4ELNS_13LoopSchedulerE0ELNS_15PipelineVersionE0ES6_S7_EELb0EEEvNT_8ArgumentE, .Lfunc_end2-_ZN2ck27kernel_gemm_xdl_cshuffle_v1INS_43GridwiseGemm_k0mk1_k0nk1_mn_xdl_cshuffle_v1INS_13tensor_layout4gemm8RowMajorENS3_11ColumnMajorES4_NS_9f8_fnuz_tENS_10bf8_fnuz_tEffDF16_NS_16tensor_operation12element_wise11PassThroughESA_SA_LNS8_6device18GemmSpecializationE0ELNS_25InMemoryDataOperationEnumE0ELi1ELi256ELi256ELi128ELi64ELi16ELi16ELi16ELi16ELi8ELi4ENS_8SequenceIJLi4ELi64ELi1EEEENSE_IJLi1ELi0ELi2EEEESG_Li2ELi16ELi16ELb0ELi1ESF_SG_SG_Li2ELi8ELi8ELb0ELi1ELi1ELi1ENSE_IJLi1ELi32ELi1ELi8EEEELi4ELNS_13LoopSchedulerE0ELNS_15PipelineVersionE0ES6_S7_EELb0EEEvNT_8ArgumentE
                                        ; -- End function
	.set _ZN2ck27kernel_gemm_xdl_cshuffle_v1INS_43GridwiseGemm_k0mk1_k0nk1_mn_xdl_cshuffle_v1INS_13tensor_layout4gemm8RowMajorENS3_11ColumnMajorES4_NS_9f8_fnuz_tENS_10bf8_fnuz_tEffDF16_NS_16tensor_operation12element_wise11PassThroughESA_SA_LNS8_6device18GemmSpecializationE0ELNS_25InMemoryDataOperationEnumE0ELi1ELi256ELi256ELi128ELi64ELi16ELi16ELi16ELi16ELi8ELi4ENS_8SequenceIJLi4ELi64ELi1EEEENSE_IJLi1ELi0ELi2EEEESG_Li2ELi16ELi16ELb0ELi1ESF_SG_SG_Li2ELi8ELi8ELb0ELi1ELi1ELi1ENSE_IJLi1ELi32ELi1ELi8EEEELi4ELNS_13LoopSchedulerE0ELNS_15PipelineVersionE0ES6_S7_EELb0EEEvNT_8ArgumentE.num_vgpr, 98
	.set _ZN2ck27kernel_gemm_xdl_cshuffle_v1INS_43GridwiseGemm_k0mk1_k0nk1_mn_xdl_cshuffle_v1INS_13tensor_layout4gemm8RowMajorENS3_11ColumnMajorES4_NS_9f8_fnuz_tENS_10bf8_fnuz_tEffDF16_NS_16tensor_operation12element_wise11PassThroughESA_SA_LNS8_6device18GemmSpecializationE0ELNS_25InMemoryDataOperationEnumE0ELi1ELi256ELi256ELi128ELi64ELi16ELi16ELi16ELi16ELi8ELi4ENS_8SequenceIJLi4ELi64ELi1EEEENSE_IJLi1ELi0ELi2EEEESG_Li2ELi16ELi16ELb0ELi1ESF_SG_SG_Li2ELi8ELi8ELb0ELi1ELi1ELi1ENSE_IJLi1ELi32ELi1ELi8EEEELi4ELNS_13LoopSchedulerE0ELNS_15PipelineVersionE0ES6_S7_EELb0EEEvNT_8ArgumentE.num_agpr, 0
	.set _ZN2ck27kernel_gemm_xdl_cshuffle_v1INS_43GridwiseGemm_k0mk1_k0nk1_mn_xdl_cshuffle_v1INS_13tensor_layout4gemm8RowMajorENS3_11ColumnMajorES4_NS_9f8_fnuz_tENS_10bf8_fnuz_tEffDF16_NS_16tensor_operation12element_wise11PassThroughESA_SA_LNS8_6device18GemmSpecializationE0ELNS_25InMemoryDataOperationEnumE0ELi1ELi256ELi256ELi128ELi64ELi16ELi16ELi16ELi16ELi8ELi4ENS_8SequenceIJLi4ELi64ELi1EEEENSE_IJLi1ELi0ELi2EEEESG_Li2ELi16ELi16ELb0ELi1ESF_SG_SG_Li2ELi8ELi8ELb0ELi1ELi1ELi1ENSE_IJLi1ELi32ELi1ELi8EEEELi4ELNS_13LoopSchedulerE0ELNS_15PipelineVersionE0ES6_S7_EELb0EEEvNT_8ArgumentE.numbered_sgpr, 23
	.set _ZN2ck27kernel_gemm_xdl_cshuffle_v1INS_43GridwiseGemm_k0mk1_k0nk1_mn_xdl_cshuffle_v1INS_13tensor_layout4gemm8RowMajorENS3_11ColumnMajorES4_NS_9f8_fnuz_tENS_10bf8_fnuz_tEffDF16_NS_16tensor_operation12element_wise11PassThroughESA_SA_LNS8_6device18GemmSpecializationE0ELNS_25InMemoryDataOperationEnumE0ELi1ELi256ELi256ELi128ELi64ELi16ELi16ELi16ELi16ELi8ELi4ENS_8SequenceIJLi4ELi64ELi1EEEENSE_IJLi1ELi0ELi2EEEESG_Li2ELi16ELi16ELb0ELi1ESF_SG_SG_Li2ELi8ELi8ELb0ELi1ELi1ELi1ENSE_IJLi1ELi32ELi1ELi8EEEELi4ELNS_13LoopSchedulerE0ELNS_15PipelineVersionE0ES6_S7_EELb0EEEvNT_8ArgumentE.num_named_barrier, 0
	.set _ZN2ck27kernel_gemm_xdl_cshuffle_v1INS_43GridwiseGemm_k0mk1_k0nk1_mn_xdl_cshuffle_v1INS_13tensor_layout4gemm8RowMajorENS3_11ColumnMajorES4_NS_9f8_fnuz_tENS_10bf8_fnuz_tEffDF16_NS_16tensor_operation12element_wise11PassThroughESA_SA_LNS8_6device18GemmSpecializationE0ELNS_25InMemoryDataOperationEnumE0ELi1ELi256ELi256ELi128ELi64ELi16ELi16ELi16ELi16ELi8ELi4ENS_8SequenceIJLi4ELi64ELi1EEEENSE_IJLi1ELi0ELi2EEEESG_Li2ELi16ELi16ELb0ELi1ESF_SG_SG_Li2ELi8ELi8ELb0ELi1ELi1ELi1ENSE_IJLi1ELi32ELi1ELi8EEEELi4ELNS_13LoopSchedulerE0ELNS_15PipelineVersionE0ES6_S7_EELb0EEEvNT_8ArgumentE.private_seg_size, 0
	.set _ZN2ck27kernel_gemm_xdl_cshuffle_v1INS_43GridwiseGemm_k0mk1_k0nk1_mn_xdl_cshuffle_v1INS_13tensor_layout4gemm8RowMajorENS3_11ColumnMajorES4_NS_9f8_fnuz_tENS_10bf8_fnuz_tEffDF16_NS_16tensor_operation12element_wise11PassThroughESA_SA_LNS8_6device18GemmSpecializationE0ELNS_25InMemoryDataOperationEnumE0ELi1ELi256ELi256ELi128ELi64ELi16ELi16ELi16ELi16ELi8ELi4ENS_8SequenceIJLi4ELi64ELi1EEEENSE_IJLi1ELi0ELi2EEEESG_Li2ELi16ELi16ELb0ELi1ESF_SG_SG_Li2ELi8ELi8ELb0ELi1ELi1ELi1ENSE_IJLi1ELi32ELi1ELi8EEEELi4ELNS_13LoopSchedulerE0ELNS_15PipelineVersionE0ES6_S7_EELb0EEEvNT_8ArgumentE.uses_vcc, 0
	.set _ZN2ck27kernel_gemm_xdl_cshuffle_v1INS_43GridwiseGemm_k0mk1_k0nk1_mn_xdl_cshuffle_v1INS_13tensor_layout4gemm8RowMajorENS3_11ColumnMajorES4_NS_9f8_fnuz_tENS_10bf8_fnuz_tEffDF16_NS_16tensor_operation12element_wise11PassThroughESA_SA_LNS8_6device18GemmSpecializationE0ELNS_25InMemoryDataOperationEnumE0ELi1ELi256ELi256ELi128ELi64ELi16ELi16ELi16ELi16ELi8ELi4ENS_8SequenceIJLi4ELi64ELi1EEEENSE_IJLi1ELi0ELi2EEEESG_Li2ELi16ELi16ELb0ELi1ESF_SG_SG_Li2ELi8ELi8ELb0ELi1ELi1ELi1ENSE_IJLi1ELi32ELi1ELi8EEEELi4ELNS_13LoopSchedulerE0ELNS_15PipelineVersionE0ES6_S7_EELb0EEEvNT_8ArgumentE.uses_flat_scratch, 0
	.set _ZN2ck27kernel_gemm_xdl_cshuffle_v1INS_43GridwiseGemm_k0mk1_k0nk1_mn_xdl_cshuffle_v1INS_13tensor_layout4gemm8RowMajorENS3_11ColumnMajorES4_NS_9f8_fnuz_tENS_10bf8_fnuz_tEffDF16_NS_16tensor_operation12element_wise11PassThroughESA_SA_LNS8_6device18GemmSpecializationE0ELNS_25InMemoryDataOperationEnumE0ELi1ELi256ELi256ELi128ELi64ELi16ELi16ELi16ELi16ELi8ELi4ENS_8SequenceIJLi4ELi64ELi1EEEENSE_IJLi1ELi0ELi2EEEESG_Li2ELi16ELi16ELb0ELi1ESF_SG_SG_Li2ELi8ELi8ELb0ELi1ELi1ELi1ENSE_IJLi1ELi32ELi1ELi8EEEELi4ELNS_13LoopSchedulerE0ELNS_15PipelineVersionE0ES6_S7_EELb0EEEvNT_8ArgumentE.has_dyn_sized_stack, 0
	.set _ZN2ck27kernel_gemm_xdl_cshuffle_v1INS_43GridwiseGemm_k0mk1_k0nk1_mn_xdl_cshuffle_v1INS_13tensor_layout4gemm8RowMajorENS3_11ColumnMajorES4_NS_9f8_fnuz_tENS_10bf8_fnuz_tEffDF16_NS_16tensor_operation12element_wise11PassThroughESA_SA_LNS8_6device18GemmSpecializationE0ELNS_25InMemoryDataOperationEnumE0ELi1ELi256ELi256ELi128ELi64ELi16ELi16ELi16ELi16ELi8ELi4ENS_8SequenceIJLi4ELi64ELi1EEEENSE_IJLi1ELi0ELi2EEEESG_Li2ELi16ELi16ELb0ELi1ESF_SG_SG_Li2ELi8ELi8ELb0ELi1ELi1ELi1ENSE_IJLi1ELi32ELi1ELi8EEEELi4ELNS_13LoopSchedulerE0ELNS_15PipelineVersionE0ES6_S7_EELb0EEEvNT_8ArgumentE.has_recursion, 0
	.set _ZN2ck27kernel_gemm_xdl_cshuffle_v1INS_43GridwiseGemm_k0mk1_k0nk1_mn_xdl_cshuffle_v1INS_13tensor_layout4gemm8RowMajorENS3_11ColumnMajorES4_NS_9f8_fnuz_tENS_10bf8_fnuz_tEffDF16_NS_16tensor_operation12element_wise11PassThroughESA_SA_LNS8_6device18GemmSpecializationE0ELNS_25InMemoryDataOperationEnumE0ELi1ELi256ELi256ELi128ELi64ELi16ELi16ELi16ELi16ELi8ELi4ENS_8SequenceIJLi4ELi64ELi1EEEENSE_IJLi1ELi0ELi2EEEESG_Li2ELi16ELi16ELb0ELi1ESF_SG_SG_Li2ELi8ELi8ELb0ELi1ELi1ELi1ENSE_IJLi1ELi32ELi1ELi8EEEELi4ELNS_13LoopSchedulerE0ELNS_15PipelineVersionE0ES6_S7_EELb0EEEvNT_8ArgumentE.has_indirect_call, 0
	.section	.AMDGPU.csdata,"",@progbits
; Kernel info:
; codeLenInByte = 4048
; TotalNumSgprs: 29
; NumVgprs: 98
; NumAgprs: 0
; TotalNumVgprs: 98
; ScratchSize: 0
; MemoryBound: 0
; FloatMode: 240
; IeeeMode: 1
; LDSByteSize: 24672 bytes/workgroup (compile time only)
; SGPRBlocks: 12
; VGPRBlocks: 12
; NumSGPRsForWavesPerEU: 97
; NumVGPRsForWavesPerEU: 98
; AccumOffset: 100
; Occupancy: 4
; WaveLimiterHint : 0
; COMPUTE_PGM_RSRC2:SCRATCH_EN: 0
; COMPUTE_PGM_RSRC2:USER_SGPR: 2
; COMPUTE_PGM_RSRC2:TRAP_HANDLER: 0
; COMPUTE_PGM_RSRC2:TGID_X_EN: 1
; COMPUTE_PGM_RSRC2:TGID_Y_EN: 0
; COMPUTE_PGM_RSRC2:TGID_Z_EN: 0
; COMPUTE_PGM_RSRC2:TIDIG_COMP_CNT: 0
; COMPUTE_PGM_RSRC3_GFX90A:ACCUM_OFFSET: 24
; COMPUTE_PGM_RSRC3_GFX90A:TG_SPLIT: 0
	.section	.text._ZN2ck27kernel_gemm_xdl_cshuffle_v1INS_43GridwiseGemm_k0mk1_k0nk1_mn_xdl_cshuffle_v1INS_13tensor_layout4gemm8RowMajorENS3_11ColumnMajorES4_NS_9f8_fnuz_tENS_10bf8_fnuz_tEffDF16_NS_16tensor_operation12element_wise11PassThroughESA_SA_LNS8_6device18GemmSpecializationE0ELNS_25InMemoryDataOperationEnumE0ELi1ELi256ELi256ELi128ELi64ELi16ELi16ELi16ELi16ELi8ELi2ENS_8SequenceIJLi4ELi64ELi1EEEENSE_IJLi1ELi0ELi2EEEESG_Li2ELi16ELi16ELb0ELi1ESF_SG_SG_Li2ELi8ELi8ELb0ELi1ELi1ELi1ENSE_IJLi1ELi32ELi1ELi8EEEELi4ELNS_13LoopSchedulerE0ELNS_15PipelineVersionE0ES6_S7_EELb1EEEvNT_8ArgumentE,"axG",@progbits,_ZN2ck27kernel_gemm_xdl_cshuffle_v1INS_43GridwiseGemm_k0mk1_k0nk1_mn_xdl_cshuffle_v1INS_13tensor_layout4gemm8RowMajorENS3_11ColumnMajorES4_NS_9f8_fnuz_tENS_10bf8_fnuz_tEffDF16_NS_16tensor_operation12element_wise11PassThroughESA_SA_LNS8_6device18GemmSpecializationE0ELNS_25InMemoryDataOperationEnumE0ELi1ELi256ELi256ELi128ELi64ELi16ELi16ELi16ELi16ELi8ELi2ENS_8SequenceIJLi4ELi64ELi1EEEENSE_IJLi1ELi0ELi2EEEESG_Li2ELi16ELi16ELb0ELi1ESF_SG_SG_Li2ELi8ELi8ELb0ELi1ELi1ELi1ENSE_IJLi1ELi32ELi1ELi8EEEELi4ELNS_13LoopSchedulerE0ELNS_15PipelineVersionE0ES6_S7_EELb1EEEvNT_8ArgumentE,comdat
	.protected	_ZN2ck27kernel_gemm_xdl_cshuffle_v1INS_43GridwiseGemm_k0mk1_k0nk1_mn_xdl_cshuffle_v1INS_13tensor_layout4gemm8RowMajorENS3_11ColumnMajorES4_NS_9f8_fnuz_tENS_10bf8_fnuz_tEffDF16_NS_16tensor_operation12element_wise11PassThroughESA_SA_LNS8_6device18GemmSpecializationE0ELNS_25InMemoryDataOperationEnumE0ELi1ELi256ELi256ELi128ELi64ELi16ELi16ELi16ELi16ELi8ELi2ENS_8SequenceIJLi4ELi64ELi1EEEENSE_IJLi1ELi0ELi2EEEESG_Li2ELi16ELi16ELb0ELi1ESF_SG_SG_Li2ELi8ELi8ELb0ELi1ELi1ELi1ENSE_IJLi1ELi32ELi1ELi8EEEELi4ELNS_13LoopSchedulerE0ELNS_15PipelineVersionE0ES6_S7_EELb1EEEvNT_8ArgumentE ; -- Begin function _ZN2ck27kernel_gemm_xdl_cshuffle_v1INS_43GridwiseGemm_k0mk1_k0nk1_mn_xdl_cshuffle_v1INS_13tensor_layout4gemm8RowMajorENS3_11ColumnMajorES4_NS_9f8_fnuz_tENS_10bf8_fnuz_tEffDF16_NS_16tensor_operation12element_wise11PassThroughESA_SA_LNS8_6device18GemmSpecializationE0ELNS_25InMemoryDataOperationEnumE0ELi1ELi256ELi256ELi128ELi64ELi16ELi16ELi16ELi16ELi8ELi2ENS_8SequenceIJLi4ELi64ELi1EEEENSE_IJLi1ELi0ELi2EEEESG_Li2ELi16ELi16ELb0ELi1ESF_SG_SG_Li2ELi8ELi8ELb0ELi1ELi1ELi1ENSE_IJLi1ELi32ELi1ELi8EEEELi4ELNS_13LoopSchedulerE0ELNS_15PipelineVersionE0ES6_S7_EELb1EEEvNT_8ArgumentE
	.globl	_ZN2ck27kernel_gemm_xdl_cshuffle_v1INS_43GridwiseGemm_k0mk1_k0nk1_mn_xdl_cshuffle_v1INS_13tensor_layout4gemm8RowMajorENS3_11ColumnMajorES4_NS_9f8_fnuz_tENS_10bf8_fnuz_tEffDF16_NS_16tensor_operation12element_wise11PassThroughESA_SA_LNS8_6device18GemmSpecializationE0ELNS_25InMemoryDataOperationEnumE0ELi1ELi256ELi256ELi128ELi64ELi16ELi16ELi16ELi16ELi8ELi2ENS_8SequenceIJLi4ELi64ELi1EEEENSE_IJLi1ELi0ELi2EEEESG_Li2ELi16ELi16ELb0ELi1ESF_SG_SG_Li2ELi8ELi8ELb0ELi1ELi1ELi1ENSE_IJLi1ELi32ELi1ELi8EEEELi4ELNS_13LoopSchedulerE0ELNS_15PipelineVersionE0ES6_S7_EELb1EEEvNT_8ArgumentE
	.p2align	8
	.type	_ZN2ck27kernel_gemm_xdl_cshuffle_v1INS_43GridwiseGemm_k0mk1_k0nk1_mn_xdl_cshuffle_v1INS_13tensor_layout4gemm8RowMajorENS3_11ColumnMajorES4_NS_9f8_fnuz_tENS_10bf8_fnuz_tEffDF16_NS_16tensor_operation12element_wise11PassThroughESA_SA_LNS8_6device18GemmSpecializationE0ELNS_25InMemoryDataOperationEnumE0ELi1ELi256ELi256ELi128ELi64ELi16ELi16ELi16ELi16ELi8ELi2ENS_8SequenceIJLi4ELi64ELi1EEEENSE_IJLi1ELi0ELi2EEEESG_Li2ELi16ELi16ELb0ELi1ESF_SG_SG_Li2ELi8ELi8ELb0ELi1ELi1ELi1ENSE_IJLi1ELi32ELi1ELi8EEEELi4ELNS_13LoopSchedulerE0ELNS_15PipelineVersionE0ES6_S7_EELb1EEEvNT_8ArgumentE,@function
_ZN2ck27kernel_gemm_xdl_cshuffle_v1INS_43GridwiseGemm_k0mk1_k0nk1_mn_xdl_cshuffle_v1INS_13tensor_layout4gemm8RowMajorENS3_11ColumnMajorES4_NS_9f8_fnuz_tENS_10bf8_fnuz_tEffDF16_NS_16tensor_operation12element_wise11PassThroughESA_SA_LNS8_6device18GemmSpecializationE0ELNS_25InMemoryDataOperationEnumE0ELi1ELi256ELi256ELi128ELi64ELi16ELi16ELi16ELi16ELi8ELi2ENS_8SequenceIJLi4ELi64ELi1EEEENSE_IJLi1ELi0ELi2EEEESG_Li2ELi16ELi16ELb0ELi1ESF_SG_SG_Li2ELi8ELi8ELb0ELi1ELi1ELi1ENSE_IJLi1ELi32ELi1ELi8EEEELi4ELNS_13LoopSchedulerE0ELNS_15PipelineVersionE0ES6_S7_EELb1EEEvNT_8ArgumentE: ; @_ZN2ck27kernel_gemm_xdl_cshuffle_v1INS_43GridwiseGemm_k0mk1_k0nk1_mn_xdl_cshuffle_v1INS_13tensor_layout4gemm8RowMajorENS3_11ColumnMajorES4_NS_9f8_fnuz_tENS_10bf8_fnuz_tEffDF16_NS_16tensor_operation12element_wise11PassThroughESA_SA_LNS8_6device18GemmSpecializationE0ELNS_25InMemoryDataOperationEnumE0ELi1ELi256ELi256ELi128ELi64ELi16ELi16ELi16ELi16ELi8ELi2ENS_8SequenceIJLi4ELi64ELi1EEEENSE_IJLi1ELi0ELi2EEEESG_Li2ELi16ELi16ELb0ELi1ESF_SG_SG_Li2ELi8ELi8ELb0ELi1ELi1ELi1ENSE_IJLi1ELi32ELi1ELi8EEEELi4ELNS_13LoopSchedulerE0ELNS_15PipelineVersionE0ES6_S7_EELb1EEEvNT_8ArgumentE
; %bb.0:
	s_endpgm
	.section	.rodata,"a",@progbits
	.p2align	6, 0x0
	.amdhsa_kernel _ZN2ck27kernel_gemm_xdl_cshuffle_v1INS_43GridwiseGemm_k0mk1_k0nk1_mn_xdl_cshuffle_v1INS_13tensor_layout4gemm8RowMajorENS3_11ColumnMajorES4_NS_9f8_fnuz_tENS_10bf8_fnuz_tEffDF16_NS_16tensor_operation12element_wise11PassThroughESA_SA_LNS8_6device18GemmSpecializationE0ELNS_25InMemoryDataOperationEnumE0ELi1ELi256ELi256ELi128ELi64ELi16ELi16ELi16ELi16ELi8ELi2ENS_8SequenceIJLi4ELi64ELi1EEEENSE_IJLi1ELi0ELi2EEEESG_Li2ELi16ELi16ELb0ELi1ESF_SG_SG_Li2ELi8ELi8ELb0ELi1ELi1ELi1ENSE_IJLi1ELi32ELi1ELi8EEEELi4ELNS_13LoopSchedulerE0ELNS_15PipelineVersionE0ES6_S7_EELb1EEEvNT_8ArgumentE
		.amdhsa_group_segment_fixed_size 0
		.amdhsa_private_segment_fixed_size 0
		.amdhsa_kernarg_size 96
		.amdhsa_user_sgpr_count 2
		.amdhsa_user_sgpr_dispatch_ptr 0
		.amdhsa_user_sgpr_queue_ptr 0
		.amdhsa_user_sgpr_kernarg_segment_ptr 1
		.amdhsa_user_sgpr_dispatch_id 0
		.amdhsa_user_sgpr_kernarg_preload_length 0
		.amdhsa_user_sgpr_kernarg_preload_offset 0
		.amdhsa_user_sgpr_private_segment_size 0
		.amdhsa_uses_dynamic_stack 0
		.amdhsa_enable_private_segment 0
		.amdhsa_system_sgpr_workgroup_id_x 1
		.amdhsa_system_sgpr_workgroup_id_y 0
		.amdhsa_system_sgpr_workgroup_id_z 0
		.amdhsa_system_sgpr_workgroup_info 0
		.amdhsa_system_vgpr_workitem_id 0
		.amdhsa_next_free_vgpr 1
		.amdhsa_next_free_sgpr 0
		.amdhsa_accum_offset 4
		.amdhsa_reserve_vcc 0
		.amdhsa_float_round_mode_32 0
		.amdhsa_float_round_mode_16_64 0
		.amdhsa_float_denorm_mode_32 3
		.amdhsa_float_denorm_mode_16_64 3
		.amdhsa_dx10_clamp 1
		.amdhsa_ieee_mode 1
		.amdhsa_fp16_overflow 0
		.amdhsa_tg_split 0
		.amdhsa_exception_fp_ieee_invalid_op 0
		.amdhsa_exception_fp_denorm_src 0
		.amdhsa_exception_fp_ieee_div_zero 0
		.amdhsa_exception_fp_ieee_overflow 0
		.amdhsa_exception_fp_ieee_underflow 0
		.amdhsa_exception_fp_ieee_inexact 0
		.amdhsa_exception_int_div_zero 0
	.end_amdhsa_kernel
	.section	.text._ZN2ck27kernel_gemm_xdl_cshuffle_v1INS_43GridwiseGemm_k0mk1_k0nk1_mn_xdl_cshuffle_v1INS_13tensor_layout4gemm8RowMajorENS3_11ColumnMajorES4_NS_9f8_fnuz_tENS_10bf8_fnuz_tEffDF16_NS_16tensor_operation12element_wise11PassThroughESA_SA_LNS8_6device18GemmSpecializationE0ELNS_25InMemoryDataOperationEnumE0ELi1ELi256ELi256ELi128ELi64ELi16ELi16ELi16ELi16ELi8ELi2ENS_8SequenceIJLi4ELi64ELi1EEEENSE_IJLi1ELi0ELi2EEEESG_Li2ELi16ELi16ELb0ELi1ESF_SG_SG_Li2ELi8ELi8ELb0ELi1ELi1ELi1ENSE_IJLi1ELi32ELi1ELi8EEEELi4ELNS_13LoopSchedulerE0ELNS_15PipelineVersionE0ES6_S7_EELb1EEEvNT_8ArgumentE,"axG",@progbits,_ZN2ck27kernel_gemm_xdl_cshuffle_v1INS_43GridwiseGemm_k0mk1_k0nk1_mn_xdl_cshuffle_v1INS_13tensor_layout4gemm8RowMajorENS3_11ColumnMajorES4_NS_9f8_fnuz_tENS_10bf8_fnuz_tEffDF16_NS_16tensor_operation12element_wise11PassThroughESA_SA_LNS8_6device18GemmSpecializationE0ELNS_25InMemoryDataOperationEnumE0ELi1ELi256ELi256ELi128ELi64ELi16ELi16ELi16ELi16ELi8ELi2ENS_8SequenceIJLi4ELi64ELi1EEEENSE_IJLi1ELi0ELi2EEEESG_Li2ELi16ELi16ELb0ELi1ESF_SG_SG_Li2ELi8ELi8ELb0ELi1ELi1ELi1ENSE_IJLi1ELi32ELi1ELi8EEEELi4ELNS_13LoopSchedulerE0ELNS_15PipelineVersionE0ES6_S7_EELb1EEEvNT_8ArgumentE,comdat
.Lfunc_end3:
	.size	_ZN2ck27kernel_gemm_xdl_cshuffle_v1INS_43GridwiseGemm_k0mk1_k0nk1_mn_xdl_cshuffle_v1INS_13tensor_layout4gemm8RowMajorENS3_11ColumnMajorES4_NS_9f8_fnuz_tENS_10bf8_fnuz_tEffDF16_NS_16tensor_operation12element_wise11PassThroughESA_SA_LNS8_6device18GemmSpecializationE0ELNS_25InMemoryDataOperationEnumE0ELi1ELi256ELi256ELi128ELi64ELi16ELi16ELi16ELi16ELi8ELi2ENS_8SequenceIJLi4ELi64ELi1EEEENSE_IJLi1ELi0ELi2EEEESG_Li2ELi16ELi16ELb0ELi1ESF_SG_SG_Li2ELi8ELi8ELb0ELi1ELi1ELi1ENSE_IJLi1ELi32ELi1ELi8EEEELi4ELNS_13LoopSchedulerE0ELNS_15PipelineVersionE0ES6_S7_EELb1EEEvNT_8ArgumentE, .Lfunc_end3-_ZN2ck27kernel_gemm_xdl_cshuffle_v1INS_43GridwiseGemm_k0mk1_k0nk1_mn_xdl_cshuffle_v1INS_13tensor_layout4gemm8RowMajorENS3_11ColumnMajorES4_NS_9f8_fnuz_tENS_10bf8_fnuz_tEffDF16_NS_16tensor_operation12element_wise11PassThroughESA_SA_LNS8_6device18GemmSpecializationE0ELNS_25InMemoryDataOperationEnumE0ELi1ELi256ELi256ELi128ELi64ELi16ELi16ELi16ELi16ELi8ELi2ENS_8SequenceIJLi4ELi64ELi1EEEENSE_IJLi1ELi0ELi2EEEESG_Li2ELi16ELi16ELb0ELi1ESF_SG_SG_Li2ELi8ELi8ELb0ELi1ELi1ELi1ENSE_IJLi1ELi32ELi1ELi8EEEELi4ELNS_13LoopSchedulerE0ELNS_15PipelineVersionE0ES6_S7_EELb1EEEvNT_8ArgumentE
                                        ; -- End function
	.set _ZN2ck27kernel_gemm_xdl_cshuffle_v1INS_43GridwiseGemm_k0mk1_k0nk1_mn_xdl_cshuffle_v1INS_13tensor_layout4gemm8RowMajorENS3_11ColumnMajorES4_NS_9f8_fnuz_tENS_10bf8_fnuz_tEffDF16_NS_16tensor_operation12element_wise11PassThroughESA_SA_LNS8_6device18GemmSpecializationE0ELNS_25InMemoryDataOperationEnumE0ELi1ELi256ELi256ELi128ELi64ELi16ELi16ELi16ELi16ELi8ELi2ENS_8SequenceIJLi4ELi64ELi1EEEENSE_IJLi1ELi0ELi2EEEESG_Li2ELi16ELi16ELb0ELi1ESF_SG_SG_Li2ELi8ELi8ELb0ELi1ELi1ELi1ENSE_IJLi1ELi32ELi1ELi8EEEELi4ELNS_13LoopSchedulerE0ELNS_15PipelineVersionE0ES6_S7_EELb1EEEvNT_8ArgumentE.num_vgpr, 0
	.set _ZN2ck27kernel_gemm_xdl_cshuffle_v1INS_43GridwiseGemm_k0mk1_k0nk1_mn_xdl_cshuffle_v1INS_13tensor_layout4gemm8RowMajorENS3_11ColumnMajorES4_NS_9f8_fnuz_tENS_10bf8_fnuz_tEffDF16_NS_16tensor_operation12element_wise11PassThroughESA_SA_LNS8_6device18GemmSpecializationE0ELNS_25InMemoryDataOperationEnumE0ELi1ELi256ELi256ELi128ELi64ELi16ELi16ELi16ELi16ELi8ELi2ENS_8SequenceIJLi4ELi64ELi1EEEENSE_IJLi1ELi0ELi2EEEESG_Li2ELi16ELi16ELb0ELi1ESF_SG_SG_Li2ELi8ELi8ELb0ELi1ELi1ELi1ENSE_IJLi1ELi32ELi1ELi8EEEELi4ELNS_13LoopSchedulerE0ELNS_15PipelineVersionE0ES6_S7_EELb1EEEvNT_8ArgumentE.num_agpr, 0
	.set _ZN2ck27kernel_gemm_xdl_cshuffle_v1INS_43GridwiseGemm_k0mk1_k0nk1_mn_xdl_cshuffle_v1INS_13tensor_layout4gemm8RowMajorENS3_11ColumnMajorES4_NS_9f8_fnuz_tENS_10bf8_fnuz_tEffDF16_NS_16tensor_operation12element_wise11PassThroughESA_SA_LNS8_6device18GemmSpecializationE0ELNS_25InMemoryDataOperationEnumE0ELi1ELi256ELi256ELi128ELi64ELi16ELi16ELi16ELi16ELi8ELi2ENS_8SequenceIJLi4ELi64ELi1EEEENSE_IJLi1ELi0ELi2EEEESG_Li2ELi16ELi16ELb0ELi1ESF_SG_SG_Li2ELi8ELi8ELb0ELi1ELi1ELi1ENSE_IJLi1ELi32ELi1ELi8EEEELi4ELNS_13LoopSchedulerE0ELNS_15PipelineVersionE0ES6_S7_EELb1EEEvNT_8ArgumentE.numbered_sgpr, 0
	.set _ZN2ck27kernel_gemm_xdl_cshuffle_v1INS_43GridwiseGemm_k0mk1_k0nk1_mn_xdl_cshuffle_v1INS_13tensor_layout4gemm8RowMajorENS3_11ColumnMajorES4_NS_9f8_fnuz_tENS_10bf8_fnuz_tEffDF16_NS_16tensor_operation12element_wise11PassThroughESA_SA_LNS8_6device18GemmSpecializationE0ELNS_25InMemoryDataOperationEnumE0ELi1ELi256ELi256ELi128ELi64ELi16ELi16ELi16ELi16ELi8ELi2ENS_8SequenceIJLi4ELi64ELi1EEEENSE_IJLi1ELi0ELi2EEEESG_Li2ELi16ELi16ELb0ELi1ESF_SG_SG_Li2ELi8ELi8ELb0ELi1ELi1ELi1ENSE_IJLi1ELi32ELi1ELi8EEEELi4ELNS_13LoopSchedulerE0ELNS_15PipelineVersionE0ES6_S7_EELb1EEEvNT_8ArgumentE.num_named_barrier, 0
	.set _ZN2ck27kernel_gemm_xdl_cshuffle_v1INS_43GridwiseGemm_k0mk1_k0nk1_mn_xdl_cshuffle_v1INS_13tensor_layout4gemm8RowMajorENS3_11ColumnMajorES4_NS_9f8_fnuz_tENS_10bf8_fnuz_tEffDF16_NS_16tensor_operation12element_wise11PassThroughESA_SA_LNS8_6device18GemmSpecializationE0ELNS_25InMemoryDataOperationEnumE0ELi1ELi256ELi256ELi128ELi64ELi16ELi16ELi16ELi16ELi8ELi2ENS_8SequenceIJLi4ELi64ELi1EEEENSE_IJLi1ELi0ELi2EEEESG_Li2ELi16ELi16ELb0ELi1ESF_SG_SG_Li2ELi8ELi8ELb0ELi1ELi1ELi1ENSE_IJLi1ELi32ELi1ELi8EEEELi4ELNS_13LoopSchedulerE0ELNS_15PipelineVersionE0ES6_S7_EELb1EEEvNT_8ArgumentE.private_seg_size, 0
	.set _ZN2ck27kernel_gemm_xdl_cshuffle_v1INS_43GridwiseGemm_k0mk1_k0nk1_mn_xdl_cshuffle_v1INS_13tensor_layout4gemm8RowMajorENS3_11ColumnMajorES4_NS_9f8_fnuz_tENS_10bf8_fnuz_tEffDF16_NS_16tensor_operation12element_wise11PassThroughESA_SA_LNS8_6device18GemmSpecializationE0ELNS_25InMemoryDataOperationEnumE0ELi1ELi256ELi256ELi128ELi64ELi16ELi16ELi16ELi16ELi8ELi2ENS_8SequenceIJLi4ELi64ELi1EEEENSE_IJLi1ELi0ELi2EEEESG_Li2ELi16ELi16ELb0ELi1ESF_SG_SG_Li2ELi8ELi8ELb0ELi1ELi1ELi1ENSE_IJLi1ELi32ELi1ELi8EEEELi4ELNS_13LoopSchedulerE0ELNS_15PipelineVersionE0ES6_S7_EELb1EEEvNT_8ArgumentE.uses_vcc, 0
	.set _ZN2ck27kernel_gemm_xdl_cshuffle_v1INS_43GridwiseGemm_k0mk1_k0nk1_mn_xdl_cshuffle_v1INS_13tensor_layout4gemm8RowMajorENS3_11ColumnMajorES4_NS_9f8_fnuz_tENS_10bf8_fnuz_tEffDF16_NS_16tensor_operation12element_wise11PassThroughESA_SA_LNS8_6device18GemmSpecializationE0ELNS_25InMemoryDataOperationEnumE0ELi1ELi256ELi256ELi128ELi64ELi16ELi16ELi16ELi16ELi8ELi2ENS_8SequenceIJLi4ELi64ELi1EEEENSE_IJLi1ELi0ELi2EEEESG_Li2ELi16ELi16ELb0ELi1ESF_SG_SG_Li2ELi8ELi8ELb0ELi1ELi1ELi1ENSE_IJLi1ELi32ELi1ELi8EEEELi4ELNS_13LoopSchedulerE0ELNS_15PipelineVersionE0ES6_S7_EELb1EEEvNT_8ArgumentE.uses_flat_scratch, 0
	.set _ZN2ck27kernel_gemm_xdl_cshuffle_v1INS_43GridwiseGemm_k0mk1_k0nk1_mn_xdl_cshuffle_v1INS_13tensor_layout4gemm8RowMajorENS3_11ColumnMajorES4_NS_9f8_fnuz_tENS_10bf8_fnuz_tEffDF16_NS_16tensor_operation12element_wise11PassThroughESA_SA_LNS8_6device18GemmSpecializationE0ELNS_25InMemoryDataOperationEnumE0ELi1ELi256ELi256ELi128ELi64ELi16ELi16ELi16ELi16ELi8ELi2ENS_8SequenceIJLi4ELi64ELi1EEEENSE_IJLi1ELi0ELi2EEEESG_Li2ELi16ELi16ELb0ELi1ESF_SG_SG_Li2ELi8ELi8ELb0ELi1ELi1ELi1ENSE_IJLi1ELi32ELi1ELi8EEEELi4ELNS_13LoopSchedulerE0ELNS_15PipelineVersionE0ES6_S7_EELb1EEEvNT_8ArgumentE.has_dyn_sized_stack, 0
	.set _ZN2ck27kernel_gemm_xdl_cshuffle_v1INS_43GridwiseGemm_k0mk1_k0nk1_mn_xdl_cshuffle_v1INS_13tensor_layout4gemm8RowMajorENS3_11ColumnMajorES4_NS_9f8_fnuz_tENS_10bf8_fnuz_tEffDF16_NS_16tensor_operation12element_wise11PassThroughESA_SA_LNS8_6device18GemmSpecializationE0ELNS_25InMemoryDataOperationEnumE0ELi1ELi256ELi256ELi128ELi64ELi16ELi16ELi16ELi16ELi8ELi2ENS_8SequenceIJLi4ELi64ELi1EEEENSE_IJLi1ELi0ELi2EEEESG_Li2ELi16ELi16ELb0ELi1ESF_SG_SG_Li2ELi8ELi8ELb0ELi1ELi1ELi1ENSE_IJLi1ELi32ELi1ELi8EEEELi4ELNS_13LoopSchedulerE0ELNS_15PipelineVersionE0ES6_S7_EELb1EEEvNT_8ArgumentE.has_recursion, 0
	.set _ZN2ck27kernel_gemm_xdl_cshuffle_v1INS_43GridwiseGemm_k0mk1_k0nk1_mn_xdl_cshuffle_v1INS_13tensor_layout4gemm8RowMajorENS3_11ColumnMajorES4_NS_9f8_fnuz_tENS_10bf8_fnuz_tEffDF16_NS_16tensor_operation12element_wise11PassThroughESA_SA_LNS8_6device18GemmSpecializationE0ELNS_25InMemoryDataOperationEnumE0ELi1ELi256ELi256ELi128ELi64ELi16ELi16ELi16ELi16ELi8ELi2ENS_8SequenceIJLi4ELi64ELi1EEEENSE_IJLi1ELi0ELi2EEEESG_Li2ELi16ELi16ELb0ELi1ESF_SG_SG_Li2ELi8ELi8ELb0ELi1ELi1ELi1ENSE_IJLi1ELi32ELi1ELi8EEEELi4ELNS_13LoopSchedulerE0ELNS_15PipelineVersionE0ES6_S7_EELb1EEEvNT_8ArgumentE.has_indirect_call, 0
	.section	.AMDGPU.csdata,"",@progbits
; Kernel info:
; codeLenInByte = 4
; TotalNumSgprs: 6
; NumVgprs: 0
; NumAgprs: 0
; TotalNumVgprs: 0
; ScratchSize: 0
; MemoryBound: 0
; FloatMode: 240
; IeeeMode: 1
; LDSByteSize: 0 bytes/workgroup (compile time only)
; SGPRBlocks: 0
; VGPRBlocks: 0
; NumSGPRsForWavesPerEU: 6
; NumVGPRsForWavesPerEU: 1
; AccumOffset: 4
; Occupancy: 8
; WaveLimiterHint : 0
; COMPUTE_PGM_RSRC2:SCRATCH_EN: 0
; COMPUTE_PGM_RSRC2:USER_SGPR: 2
; COMPUTE_PGM_RSRC2:TRAP_HANDLER: 0
; COMPUTE_PGM_RSRC2:TGID_X_EN: 1
; COMPUTE_PGM_RSRC2:TGID_Y_EN: 0
; COMPUTE_PGM_RSRC2:TGID_Z_EN: 0
; COMPUTE_PGM_RSRC2:TIDIG_COMP_CNT: 0
; COMPUTE_PGM_RSRC3_GFX90A:ACCUM_OFFSET: 0
; COMPUTE_PGM_RSRC3_GFX90A:TG_SPLIT: 0
	.section	.text._ZN2ck27kernel_gemm_xdl_cshuffle_v1INS_43GridwiseGemm_k0mk1_k0nk1_mn_xdl_cshuffle_v1INS_13tensor_layout4gemm8RowMajorENS3_11ColumnMajorES4_NS_9f8_fnuz_tENS_10bf8_fnuz_tEffDF16_NS_16tensor_operation12element_wise11PassThroughESA_SA_LNS8_6device18GemmSpecializationE0ELNS_25InMemoryDataOperationEnumE0ELi1ELi256ELi256ELi128ELi64ELi16ELi16ELi16ELi16ELi8ELi2ENS_8SequenceIJLi4ELi64ELi1EEEENSE_IJLi1ELi0ELi2EEEESG_Li2ELi16ELi16ELb0ELi1ESF_SG_SG_Li2ELi8ELi8ELb0ELi1ELi1ELi1ENSE_IJLi1ELi32ELi1ELi8EEEELi4ELNS_13LoopSchedulerE0ELNS_15PipelineVersionE0ES6_S7_EELb0EEEvNT_8ArgumentE,"axG",@progbits,_ZN2ck27kernel_gemm_xdl_cshuffle_v1INS_43GridwiseGemm_k0mk1_k0nk1_mn_xdl_cshuffle_v1INS_13tensor_layout4gemm8RowMajorENS3_11ColumnMajorES4_NS_9f8_fnuz_tENS_10bf8_fnuz_tEffDF16_NS_16tensor_operation12element_wise11PassThroughESA_SA_LNS8_6device18GemmSpecializationE0ELNS_25InMemoryDataOperationEnumE0ELi1ELi256ELi256ELi128ELi64ELi16ELi16ELi16ELi16ELi8ELi2ENS_8SequenceIJLi4ELi64ELi1EEEENSE_IJLi1ELi0ELi2EEEESG_Li2ELi16ELi16ELb0ELi1ESF_SG_SG_Li2ELi8ELi8ELb0ELi1ELi1ELi1ENSE_IJLi1ELi32ELi1ELi8EEEELi4ELNS_13LoopSchedulerE0ELNS_15PipelineVersionE0ES6_S7_EELb0EEEvNT_8ArgumentE,comdat
	.protected	_ZN2ck27kernel_gemm_xdl_cshuffle_v1INS_43GridwiseGemm_k0mk1_k0nk1_mn_xdl_cshuffle_v1INS_13tensor_layout4gemm8RowMajorENS3_11ColumnMajorES4_NS_9f8_fnuz_tENS_10bf8_fnuz_tEffDF16_NS_16tensor_operation12element_wise11PassThroughESA_SA_LNS8_6device18GemmSpecializationE0ELNS_25InMemoryDataOperationEnumE0ELi1ELi256ELi256ELi128ELi64ELi16ELi16ELi16ELi16ELi8ELi2ENS_8SequenceIJLi4ELi64ELi1EEEENSE_IJLi1ELi0ELi2EEEESG_Li2ELi16ELi16ELb0ELi1ESF_SG_SG_Li2ELi8ELi8ELb0ELi1ELi1ELi1ENSE_IJLi1ELi32ELi1ELi8EEEELi4ELNS_13LoopSchedulerE0ELNS_15PipelineVersionE0ES6_S7_EELb0EEEvNT_8ArgumentE ; -- Begin function _ZN2ck27kernel_gemm_xdl_cshuffle_v1INS_43GridwiseGemm_k0mk1_k0nk1_mn_xdl_cshuffle_v1INS_13tensor_layout4gemm8RowMajorENS3_11ColumnMajorES4_NS_9f8_fnuz_tENS_10bf8_fnuz_tEffDF16_NS_16tensor_operation12element_wise11PassThroughESA_SA_LNS8_6device18GemmSpecializationE0ELNS_25InMemoryDataOperationEnumE0ELi1ELi256ELi256ELi128ELi64ELi16ELi16ELi16ELi16ELi8ELi2ENS_8SequenceIJLi4ELi64ELi1EEEENSE_IJLi1ELi0ELi2EEEESG_Li2ELi16ELi16ELb0ELi1ESF_SG_SG_Li2ELi8ELi8ELb0ELi1ELi1ELi1ENSE_IJLi1ELi32ELi1ELi8EEEELi4ELNS_13LoopSchedulerE0ELNS_15PipelineVersionE0ES6_S7_EELb0EEEvNT_8ArgumentE
	.globl	_ZN2ck27kernel_gemm_xdl_cshuffle_v1INS_43GridwiseGemm_k0mk1_k0nk1_mn_xdl_cshuffle_v1INS_13tensor_layout4gemm8RowMajorENS3_11ColumnMajorES4_NS_9f8_fnuz_tENS_10bf8_fnuz_tEffDF16_NS_16tensor_operation12element_wise11PassThroughESA_SA_LNS8_6device18GemmSpecializationE0ELNS_25InMemoryDataOperationEnumE0ELi1ELi256ELi256ELi128ELi64ELi16ELi16ELi16ELi16ELi8ELi2ENS_8SequenceIJLi4ELi64ELi1EEEENSE_IJLi1ELi0ELi2EEEESG_Li2ELi16ELi16ELb0ELi1ESF_SG_SG_Li2ELi8ELi8ELb0ELi1ELi1ELi1ENSE_IJLi1ELi32ELi1ELi8EEEELi4ELNS_13LoopSchedulerE0ELNS_15PipelineVersionE0ES6_S7_EELb0EEEvNT_8ArgumentE
	.p2align	8
	.type	_ZN2ck27kernel_gemm_xdl_cshuffle_v1INS_43GridwiseGemm_k0mk1_k0nk1_mn_xdl_cshuffle_v1INS_13tensor_layout4gemm8RowMajorENS3_11ColumnMajorES4_NS_9f8_fnuz_tENS_10bf8_fnuz_tEffDF16_NS_16tensor_operation12element_wise11PassThroughESA_SA_LNS8_6device18GemmSpecializationE0ELNS_25InMemoryDataOperationEnumE0ELi1ELi256ELi256ELi128ELi64ELi16ELi16ELi16ELi16ELi8ELi2ENS_8SequenceIJLi4ELi64ELi1EEEENSE_IJLi1ELi0ELi2EEEESG_Li2ELi16ELi16ELb0ELi1ESF_SG_SG_Li2ELi8ELi8ELb0ELi1ELi1ELi1ENSE_IJLi1ELi32ELi1ELi8EEEELi4ELNS_13LoopSchedulerE0ELNS_15PipelineVersionE0ES6_S7_EELb0EEEvNT_8ArgumentE,@function
_ZN2ck27kernel_gemm_xdl_cshuffle_v1INS_43GridwiseGemm_k0mk1_k0nk1_mn_xdl_cshuffle_v1INS_13tensor_layout4gemm8RowMajorENS3_11ColumnMajorES4_NS_9f8_fnuz_tENS_10bf8_fnuz_tEffDF16_NS_16tensor_operation12element_wise11PassThroughESA_SA_LNS8_6device18GemmSpecializationE0ELNS_25InMemoryDataOperationEnumE0ELi1ELi256ELi256ELi128ELi64ELi16ELi16ELi16ELi16ELi8ELi2ENS_8SequenceIJLi4ELi64ELi1EEEENSE_IJLi1ELi0ELi2EEEESG_Li2ELi16ELi16ELb0ELi1ESF_SG_SG_Li2ELi8ELi8ELb0ELi1ELi1ELi1ENSE_IJLi1ELi32ELi1ELi8EEEELi4ELNS_13LoopSchedulerE0ELNS_15PipelineVersionE0ES6_S7_EELb0EEEvNT_8ArgumentE: ; @_ZN2ck27kernel_gemm_xdl_cshuffle_v1INS_43GridwiseGemm_k0mk1_k0nk1_mn_xdl_cshuffle_v1INS_13tensor_layout4gemm8RowMajorENS3_11ColumnMajorES4_NS_9f8_fnuz_tENS_10bf8_fnuz_tEffDF16_NS_16tensor_operation12element_wise11PassThroughESA_SA_LNS8_6device18GemmSpecializationE0ELNS_25InMemoryDataOperationEnumE0ELi1ELi256ELi256ELi128ELi64ELi16ELi16ELi16ELi16ELi8ELi2ENS_8SequenceIJLi4ELi64ELi1EEEENSE_IJLi1ELi0ELi2EEEESG_Li2ELi16ELi16ELb0ELi1ESF_SG_SG_Li2ELi8ELi8ELb0ELi1ELi1ELi1ENSE_IJLi1ELi32ELi1ELi8EEEELi4ELNS_13LoopSchedulerE0ELNS_15PipelineVersionE0ES6_S7_EELb0EEEvNT_8ArgumentE
; %bb.0:
	s_endpgm
	.section	.rodata,"a",@progbits
	.p2align	6, 0x0
	.amdhsa_kernel _ZN2ck27kernel_gemm_xdl_cshuffle_v1INS_43GridwiseGemm_k0mk1_k0nk1_mn_xdl_cshuffle_v1INS_13tensor_layout4gemm8RowMajorENS3_11ColumnMajorES4_NS_9f8_fnuz_tENS_10bf8_fnuz_tEffDF16_NS_16tensor_operation12element_wise11PassThroughESA_SA_LNS8_6device18GemmSpecializationE0ELNS_25InMemoryDataOperationEnumE0ELi1ELi256ELi256ELi128ELi64ELi16ELi16ELi16ELi16ELi8ELi2ENS_8SequenceIJLi4ELi64ELi1EEEENSE_IJLi1ELi0ELi2EEEESG_Li2ELi16ELi16ELb0ELi1ESF_SG_SG_Li2ELi8ELi8ELb0ELi1ELi1ELi1ENSE_IJLi1ELi32ELi1ELi8EEEELi4ELNS_13LoopSchedulerE0ELNS_15PipelineVersionE0ES6_S7_EELb0EEEvNT_8ArgumentE
		.amdhsa_group_segment_fixed_size 0
		.amdhsa_private_segment_fixed_size 0
		.amdhsa_kernarg_size 96
		.amdhsa_user_sgpr_count 2
		.amdhsa_user_sgpr_dispatch_ptr 0
		.amdhsa_user_sgpr_queue_ptr 0
		.amdhsa_user_sgpr_kernarg_segment_ptr 1
		.amdhsa_user_sgpr_dispatch_id 0
		.amdhsa_user_sgpr_kernarg_preload_length 0
		.amdhsa_user_sgpr_kernarg_preload_offset 0
		.amdhsa_user_sgpr_private_segment_size 0
		.amdhsa_uses_dynamic_stack 0
		.amdhsa_enable_private_segment 0
		.amdhsa_system_sgpr_workgroup_id_x 1
		.amdhsa_system_sgpr_workgroup_id_y 0
		.amdhsa_system_sgpr_workgroup_id_z 0
		.amdhsa_system_sgpr_workgroup_info 0
		.amdhsa_system_vgpr_workitem_id 0
		.amdhsa_next_free_vgpr 1
		.amdhsa_next_free_sgpr 0
		.amdhsa_accum_offset 4
		.amdhsa_reserve_vcc 0
		.amdhsa_float_round_mode_32 0
		.amdhsa_float_round_mode_16_64 0
		.amdhsa_float_denorm_mode_32 3
		.amdhsa_float_denorm_mode_16_64 3
		.amdhsa_dx10_clamp 1
		.amdhsa_ieee_mode 1
		.amdhsa_fp16_overflow 0
		.amdhsa_tg_split 0
		.amdhsa_exception_fp_ieee_invalid_op 0
		.amdhsa_exception_fp_denorm_src 0
		.amdhsa_exception_fp_ieee_div_zero 0
		.amdhsa_exception_fp_ieee_overflow 0
		.amdhsa_exception_fp_ieee_underflow 0
		.amdhsa_exception_fp_ieee_inexact 0
		.amdhsa_exception_int_div_zero 0
	.end_amdhsa_kernel
	.section	.text._ZN2ck27kernel_gemm_xdl_cshuffle_v1INS_43GridwiseGemm_k0mk1_k0nk1_mn_xdl_cshuffle_v1INS_13tensor_layout4gemm8RowMajorENS3_11ColumnMajorES4_NS_9f8_fnuz_tENS_10bf8_fnuz_tEffDF16_NS_16tensor_operation12element_wise11PassThroughESA_SA_LNS8_6device18GemmSpecializationE0ELNS_25InMemoryDataOperationEnumE0ELi1ELi256ELi256ELi128ELi64ELi16ELi16ELi16ELi16ELi8ELi2ENS_8SequenceIJLi4ELi64ELi1EEEENSE_IJLi1ELi0ELi2EEEESG_Li2ELi16ELi16ELb0ELi1ESF_SG_SG_Li2ELi8ELi8ELb0ELi1ELi1ELi1ENSE_IJLi1ELi32ELi1ELi8EEEELi4ELNS_13LoopSchedulerE0ELNS_15PipelineVersionE0ES6_S7_EELb0EEEvNT_8ArgumentE,"axG",@progbits,_ZN2ck27kernel_gemm_xdl_cshuffle_v1INS_43GridwiseGemm_k0mk1_k0nk1_mn_xdl_cshuffle_v1INS_13tensor_layout4gemm8RowMajorENS3_11ColumnMajorES4_NS_9f8_fnuz_tENS_10bf8_fnuz_tEffDF16_NS_16tensor_operation12element_wise11PassThroughESA_SA_LNS8_6device18GemmSpecializationE0ELNS_25InMemoryDataOperationEnumE0ELi1ELi256ELi256ELi128ELi64ELi16ELi16ELi16ELi16ELi8ELi2ENS_8SequenceIJLi4ELi64ELi1EEEENSE_IJLi1ELi0ELi2EEEESG_Li2ELi16ELi16ELb0ELi1ESF_SG_SG_Li2ELi8ELi8ELb0ELi1ELi1ELi1ENSE_IJLi1ELi32ELi1ELi8EEEELi4ELNS_13LoopSchedulerE0ELNS_15PipelineVersionE0ES6_S7_EELb0EEEvNT_8ArgumentE,comdat
.Lfunc_end4:
	.size	_ZN2ck27kernel_gemm_xdl_cshuffle_v1INS_43GridwiseGemm_k0mk1_k0nk1_mn_xdl_cshuffle_v1INS_13tensor_layout4gemm8RowMajorENS3_11ColumnMajorES4_NS_9f8_fnuz_tENS_10bf8_fnuz_tEffDF16_NS_16tensor_operation12element_wise11PassThroughESA_SA_LNS8_6device18GemmSpecializationE0ELNS_25InMemoryDataOperationEnumE0ELi1ELi256ELi256ELi128ELi64ELi16ELi16ELi16ELi16ELi8ELi2ENS_8SequenceIJLi4ELi64ELi1EEEENSE_IJLi1ELi0ELi2EEEESG_Li2ELi16ELi16ELb0ELi1ESF_SG_SG_Li2ELi8ELi8ELb0ELi1ELi1ELi1ENSE_IJLi1ELi32ELi1ELi8EEEELi4ELNS_13LoopSchedulerE0ELNS_15PipelineVersionE0ES6_S7_EELb0EEEvNT_8ArgumentE, .Lfunc_end4-_ZN2ck27kernel_gemm_xdl_cshuffle_v1INS_43GridwiseGemm_k0mk1_k0nk1_mn_xdl_cshuffle_v1INS_13tensor_layout4gemm8RowMajorENS3_11ColumnMajorES4_NS_9f8_fnuz_tENS_10bf8_fnuz_tEffDF16_NS_16tensor_operation12element_wise11PassThroughESA_SA_LNS8_6device18GemmSpecializationE0ELNS_25InMemoryDataOperationEnumE0ELi1ELi256ELi256ELi128ELi64ELi16ELi16ELi16ELi16ELi8ELi2ENS_8SequenceIJLi4ELi64ELi1EEEENSE_IJLi1ELi0ELi2EEEESG_Li2ELi16ELi16ELb0ELi1ESF_SG_SG_Li2ELi8ELi8ELb0ELi1ELi1ELi1ENSE_IJLi1ELi32ELi1ELi8EEEELi4ELNS_13LoopSchedulerE0ELNS_15PipelineVersionE0ES6_S7_EELb0EEEvNT_8ArgumentE
                                        ; -- End function
	.set _ZN2ck27kernel_gemm_xdl_cshuffle_v1INS_43GridwiseGemm_k0mk1_k0nk1_mn_xdl_cshuffle_v1INS_13tensor_layout4gemm8RowMajorENS3_11ColumnMajorES4_NS_9f8_fnuz_tENS_10bf8_fnuz_tEffDF16_NS_16tensor_operation12element_wise11PassThroughESA_SA_LNS8_6device18GemmSpecializationE0ELNS_25InMemoryDataOperationEnumE0ELi1ELi256ELi256ELi128ELi64ELi16ELi16ELi16ELi16ELi8ELi2ENS_8SequenceIJLi4ELi64ELi1EEEENSE_IJLi1ELi0ELi2EEEESG_Li2ELi16ELi16ELb0ELi1ESF_SG_SG_Li2ELi8ELi8ELb0ELi1ELi1ELi1ENSE_IJLi1ELi32ELi1ELi8EEEELi4ELNS_13LoopSchedulerE0ELNS_15PipelineVersionE0ES6_S7_EELb0EEEvNT_8ArgumentE.num_vgpr, 0
	.set _ZN2ck27kernel_gemm_xdl_cshuffle_v1INS_43GridwiseGemm_k0mk1_k0nk1_mn_xdl_cshuffle_v1INS_13tensor_layout4gemm8RowMajorENS3_11ColumnMajorES4_NS_9f8_fnuz_tENS_10bf8_fnuz_tEffDF16_NS_16tensor_operation12element_wise11PassThroughESA_SA_LNS8_6device18GemmSpecializationE0ELNS_25InMemoryDataOperationEnumE0ELi1ELi256ELi256ELi128ELi64ELi16ELi16ELi16ELi16ELi8ELi2ENS_8SequenceIJLi4ELi64ELi1EEEENSE_IJLi1ELi0ELi2EEEESG_Li2ELi16ELi16ELb0ELi1ESF_SG_SG_Li2ELi8ELi8ELb0ELi1ELi1ELi1ENSE_IJLi1ELi32ELi1ELi8EEEELi4ELNS_13LoopSchedulerE0ELNS_15PipelineVersionE0ES6_S7_EELb0EEEvNT_8ArgumentE.num_agpr, 0
	.set _ZN2ck27kernel_gemm_xdl_cshuffle_v1INS_43GridwiseGemm_k0mk1_k0nk1_mn_xdl_cshuffle_v1INS_13tensor_layout4gemm8RowMajorENS3_11ColumnMajorES4_NS_9f8_fnuz_tENS_10bf8_fnuz_tEffDF16_NS_16tensor_operation12element_wise11PassThroughESA_SA_LNS8_6device18GemmSpecializationE0ELNS_25InMemoryDataOperationEnumE0ELi1ELi256ELi256ELi128ELi64ELi16ELi16ELi16ELi16ELi8ELi2ENS_8SequenceIJLi4ELi64ELi1EEEENSE_IJLi1ELi0ELi2EEEESG_Li2ELi16ELi16ELb0ELi1ESF_SG_SG_Li2ELi8ELi8ELb0ELi1ELi1ELi1ENSE_IJLi1ELi32ELi1ELi8EEEELi4ELNS_13LoopSchedulerE0ELNS_15PipelineVersionE0ES6_S7_EELb0EEEvNT_8ArgumentE.numbered_sgpr, 0
	.set _ZN2ck27kernel_gemm_xdl_cshuffle_v1INS_43GridwiseGemm_k0mk1_k0nk1_mn_xdl_cshuffle_v1INS_13tensor_layout4gemm8RowMajorENS3_11ColumnMajorES4_NS_9f8_fnuz_tENS_10bf8_fnuz_tEffDF16_NS_16tensor_operation12element_wise11PassThroughESA_SA_LNS8_6device18GemmSpecializationE0ELNS_25InMemoryDataOperationEnumE0ELi1ELi256ELi256ELi128ELi64ELi16ELi16ELi16ELi16ELi8ELi2ENS_8SequenceIJLi4ELi64ELi1EEEENSE_IJLi1ELi0ELi2EEEESG_Li2ELi16ELi16ELb0ELi1ESF_SG_SG_Li2ELi8ELi8ELb0ELi1ELi1ELi1ENSE_IJLi1ELi32ELi1ELi8EEEELi4ELNS_13LoopSchedulerE0ELNS_15PipelineVersionE0ES6_S7_EELb0EEEvNT_8ArgumentE.num_named_barrier, 0
	.set _ZN2ck27kernel_gemm_xdl_cshuffle_v1INS_43GridwiseGemm_k0mk1_k0nk1_mn_xdl_cshuffle_v1INS_13tensor_layout4gemm8RowMajorENS3_11ColumnMajorES4_NS_9f8_fnuz_tENS_10bf8_fnuz_tEffDF16_NS_16tensor_operation12element_wise11PassThroughESA_SA_LNS8_6device18GemmSpecializationE0ELNS_25InMemoryDataOperationEnumE0ELi1ELi256ELi256ELi128ELi64ELi16ELi16ELi16ELi16ELi8ELi2ENS_8SequenceIJLi4ELi64ELi1EEEENSE_IJLi1ELi0ELi2EEEESG_Li2ELi16ELi16ELb0ELi1ESF_SG_SG_Li2ELi8ELi8ELb0ELi1ELi1ELi1ENSE_IJLi1ELi32ELi1ELi8EEEELi4ELNS_13LoopSchedulerE0ELNS_15PipelineVersionE0ES6_S7_EELb0EEEvNT_8ArgumentE.private_seg_size, 0
	.set _ZN2ck27kernel_gemm_xdl_cshuffle_v1INS_43GridwiseGemm_k0mk1_k0nk1_mn_xdl_cshuffle_v1INS_13tensor_layout4gemm8RowMajorENS3_11ColumnMajorES4_NS_9f8_fnuz_tENS_10bf8_fnuz_tEffDF16_NS_16tensor_operation12element_wise11PassThroughESA_SA_LNS8_6device18GemmSpecializationE0ELNS_25InMemoryDataOperationEnumE0ELi1ELi256ELi256ELi128ELi64ELi16ELi16ELi16ELi16ELi8ELi2ENS_8SequenceIJLi4ELi64ELi1EEEENSE_IJLi1ELi0ELi2EEEESG_Li2ELi16ELi16ELb0ELi1ESF_SG_SG_Li2ELi8ELi8ELb0ELi1ELi1ELi1ENSE_IJLi1ELi32ELi1ELi8EEEELi4ELNS_13LoopSchedulerE0ELNS_15PipelineVersionE0ES6_S7_EELb0EEEvNT_8ArgumentE.uses_vcc, 0
	.set _ZN2ck27kernel_gemm_xdl_cshuffle_v1INS_43GridwiseGemm_k0mk1_k0nk1_mn_xdl_cshuffle_v1INS_13tensor_layout4gemm8RowMajorENS3_11ColumnMajorES4_NS_9f8_fnuz_tENS_10bf8_fnuz_tEffDF16_NS_16tensor_operation12element_wise11PassThroughESA_SA_LNS8_6device18GemmSpecializationE0ELNS_25InMemoryDataOperationEnumE0ELi1ELi256ELi256ELi128ELi64ELi16ELi16ELi16ELi16ELi8ELi2ENS_8SequenceIJLi4ELi64ELi1EEEENSE_IJLi1ELi0ELi2EEEESG_Li2ELi16ELi16ELb0ELi1ESF_SG_SG_Li2ELi8ELi8ELb0ELi1ELi1ELi1ENSE_IJLi1ELi32ELi1ELi8EEEELi4ELNS_13LoopSchedulerE0ELNS_15PipelineVersionE0ES6_S7_EELb0EEEvNT_8ArgumentE.uses_flat_scratch, 0
	.set _ZN2ck27kernel_gemm_xdl_cshuffle_v1INS_43GridwiseGemm_k0mk1_k0nk1_mn_xdl_cshuffle_v1INS_13tensor_layout4gemm8RowMajorENS3_11ColumnMajorES4_NS_9f8_fnuz_tENS_10bf8_fnuz_tEffDF16_NS_16tensor_operation12element_wise11PassThroughESA_SA_LNS8_6device18GemmSpecializationE0ELNS_25InMemoryDataOperationEnumE0ELi1ELi256ELi256ELi128ELi64ELi16ELi16ELi16ELi16ELi8ELi2ENS_8SequenceIJLi4ELi64ELi1EEEENSE_IJLi1ELi0ELi2EEEESG_Li2ELi16ELi16ELb0ELi1ESF_SG_SG_Li2ELi8ELi8ELb0ELi1ELi1ELi1ENSE_IJLi1ELi32ELi1ELi8EEEELi4ELNS_13LoopSchedulerE0ELNS_15PipelineVersionE0ES6_S7_EELb0EEEvNT_8ArgumentE.has_dyn_sized_stack, 0
	.set _ZN2ck27kernel_gemm_xdl_cshuffle_v1INS_43GridwiseGemm_k0mk1_k0nk1_mn_xdl_cshuffle_v1INS_13tensor_layout4gemm8RowMajorENS3_11ColumnMajorES4_NS_9f8_fnuz_tENS_10bf8_fnuz_tEffDF16_NS_16tensor_operation12element_wise11PassThroughESA_SA_LNS8_6device18GemmSpecializationE0ELNS_25InMemoryDataOperationEnumE0ELi1ELi256ELi256ELi128ELi64ELi16ELi16ELi16ELi16ELi8ELi2ENS_8SequenceIJLi4ELi64ELi1EEEENSE_IJLi1ELi0ELi2EEEESG_Li2ELi16ELi16ELb0ELi1ESF_SG_SG_Li2ELi8ELi8ELb0ELi1ELi1ELi1ENSE_IJLi1ELi32ELi1ELi8EEEELi4ELNS_13LoopSchedulerE0ELNS_15PipelineVersionE0ES6_S7_EELb0EEEvNT_8ArgumentE.has_recursion, 0
	.set _ZN2ck27kernel_gemm_xdl_cshuffle_v1INS_43GridwiseGemm_k0mk1_k0nk1_mn_xdl_cshuffle_v1INS_13tensor_layout4gemm8RowMajorENS3_11ColumnMajorES4_NS_9f8_fnuz_tENS_10bf8_fnuz_tEffDF16_NS_16tensor_operation12element_wise11PassThroughESA_SA_LNS8_6device18GemmSpecializationE0ELNS_25InMemoryDataOperationEnumE0ELi1ELi256ELi256ELi128ELi64ELi16ELi16ELi16ELi16ELi8ELi2ENS_8SequenceIJLi4ELi64ELi1EEEENSE_IJLi1ELi0ELi2EEEESG_Li2ELi16ELi16ELb0ELi1ESF_SG_SG_Li2ELi8ELi8ELb0ELi1ELi1ELi1ENSE_IJLi1ELi32ELi1ELi8EEEELi4ELNS_13LoopSchedulerE0ELNS_15PipelineVersionE0ES6_S7_EELb0EEEvNT_8ArgumentE.has_indirect_call, 0
	.section	.AMDGPU.csdata,"",@progbits
; Kernel info:
; codeLenInByte = 4
; TotalNumSgprs: 6
; NumVgprs: 0
; NumAgprs: 0
; TotalNumVgprs: 0
; ScratchSize: 0
; MemoryBound: 0
; FloatMode: 240
; IeeeMode: 1
; LDSByteSize: 0 bytes/workgroup (compile time only)
; SGPRBlocks: 0
; VGPRBlocks: 0
; NumSGPRsForWavesPerEU: 6
; NumVGPRsForWavesPerEU: 1
; AccumOffset: 4
; Occupancy: 8
; WaveLimiterHint : 0
; COMPUTE_PGM_RSRC2:SCRATCH_EN: 0
; COMPUTE_PGM_RSRC2:USER_SGPR: 2
; COMPUTE_PGM_RSRC2:TRAP_HANDLER: 0
; COMPUTE_PGM_RSRC2:TGID_X_EN: 1
; COMPUTE_PGM_RSRC2:TGID_Y_EN: 0
; COMPUTE_PGM_RSRC2:TGID_Z_EN: 0
; COMPUTE_PGM_RSRC2:TIDIG_COMP_CNT: 0
; COMPUTE_PGM_RSRC3_GFX90A:ACCUM_OFFSET: 0
; COMPUTE_PGM_RSRC3_GFX90A:TG_SPLIT: 0
	.section	.text._ZN2ck17naive_gemm_kernelINS_13tensor_layout4gemm8RowMajorENS2_11ColumnMajorES3_NS_9f8_fnuz_tENS_10bf8_fnuz_tEDF16_fNS_16tensor_operation12element_wise11PassThroughES9_S9_DF16_DF16_EEvPKT2_PKT3_PT4_iiiT6_T7_T8_,"axG",@progbits,_ZN2ck17naive_gemm_kernelINS_13tensor_layout4gemm8RowMajorENS2_11ColumnMajorES3_NS_9f8_fnuz_tENS_10bf8_fnuz_tEDF16_fNS_16tensor_operation12element_wise11PassThroughES9_S9_DF16_DF16_EEvPKT2_PKT3_PT4_iiiT6_T7_T8_,comdat
	.protected	_ZN2ck17naive_gemm_kernelINS_13tensor_layout4gemm8RowMajorENS2_11ColumnMajorES3_NS_9f8_fnuz_tENS_10bf8_fnuz_tEDF16_fNS_16tensor_operation12element_wise11PassThroughES9_S9_DF16_DF16_EEvPKT2_PKT3_PT4_iiiT6_T7_T8_ ; -- Begin function _ZN2ck17naive_gemm_kernelINS_13tensor_layout4gemm8RowMajorENS2_11ColumnMajorES3_NS_9f8_fnuz_tENS_10bf8_fnuz_tEDF16_fNS_16tensor_operation12element_wise11PassThroughES9_S9_DF16_DF16_EEvPKT2_PKT3_PT4_iiiT6_T7_T8_
	.globl	_ZN2ck17naive_gemm_kernelINS_13tensor_layout4gemm8RowMajorENS2_11ColumnMajorES3_NS_9f8_fnuz_tENS_10bf8_fnuz_tEDF16_fNS_16tensor_operation12element_wise11PassThroughES9_S9_DF16_DF16_EEvPKT2_PKT3_PT4_iiiT6_T7_T8_
	.p2align	8
	.type	_ZN2ck17naive_gemm_kernelINS_13tensor_layout4gemm8RowMajorENS2_11ColumnMajorES3_NS_9f8_fnuz_tENS_10bf8_fnuz_tEDF16_fNS_16tensor_operation12element_wise11PassThroughES9_S9_DF16_DF16_EEvPKT2_PKT3_PT4_iiiT6_T7_T8_,@function
_ZN2ck17naive_gemm_kernelINS_13tensor_layout4gemm8RowMajorENS2_11ColumnMajorES3_NS_9f8_fnuz_tENS_10bf8_fnuz_tEDF16_fNS_16tensor_operation12element_wise11PassThroughES9_S9_DF16_DF16_EEvPKT2_PKT3_PT4_iiiT6_T7_T8_: ; @_ZN2ck17naive_gemm_kernelINS_13tensor_layout4gemm8RowMajorENS2_11ColumnMajorES3_NS_9f8_fnuz_tENS_10bf8_fnuz_tEDF16_fNS_16tensor_operation12element_wise11PassThroughES9_S9_DF16_DF16_EEvPKT2_PKT3_PT4_iiiT6_T7_T8_
; %bb.0:
	s_load_dword s8, s[0:1], 0x34
	s_load_dwordx4 s[4:7], s[0:1], 0x18
	v_and_b32_e32 v1, 0x3ff, v0
	v_bfe_u32 v0, v0, 10, 10
	s_waitcnt lgkmcnt(0)
	s_lshr_b32 s7, s8, 16
	s_and_b32 s8, s8, 0xffff
	s_mul_i32 s2, s2, s8
	s_mul_i32 s3, s3, s7
	v_add_u32_e32 v1, s2, v1
	v_add_u32_e32 v0, s3, v0
	v_cmp_gt_i32_e32 vcc, s4, v1
	v_cmp_gt_i32_e64 s[2:3], s5, v0
	s_and_b64 s[2:3], vcc, s[2:3]
	s_and_saveexec_b64 s[8:9], s[2:3]
	s_cbranch_execz .LBB5_7
; %bb.1:
	s_load_dwordx2 s[2:3], s[0:1], 0x10
	s_cmp_lt_i32 s6, 1
	s_cbranch_scc1 .LBB5_5
; %bb.2:
	s_load_dwordx4 s[8:11], s[0:1], 0x0
	v_mul_lo_u32 v4, v1, s6
	v_mul_lo_u32 v2, v0, s6
	v_ashrrev_i32_e32 v3, 31, v2
	v_ashrrev_i32_e32 v5, 31, v4
	s_waitcnt lgkmcnt(0)
	v_lshl_add_u64 v[2:3], s[10:11], 0, v[2:3]
	v_lshl_add_u64 v[4:5], s[8:9], 0, v[4:5]
	v_mov_b32_e32 v6, 0
.LBB5_3:                                ; =>This Inner Loop Header: Depth=1
	global_load_ubyte v7, v[4:5], off
	global_load_ubyte v8, v[2:3], off
	s_add_i32 s6, s6, -1
	v_lshl_add_u64 v[2:3], v[2:3], 0, 1
	v_lshl_add_u64 v[4:5], v[4:5], 0, 1
	s_cmp_eq_u32 s6, 0
	s_waitcnt vmcnt(1)
	v_cvt_f32_fp8_e32 v7, v7
	s_waitcnt vmcnt(0)
	v_cvt_f32_bf8_e32 v8, v8
	v_cvt_f16_f32_e32 v7, v7
	v_cvt_f16_f32_e32 v8, v8
	v_fma_mix_f32 v6, v7, v8, v6 op_sel_hi:[1,1,0]
	s_cbranch_scc0 .LBB5_3
; %bb.4:
	v_cvt_f16_f32_e32 v2, v6
	s_branch .LBB5_6
.LBB5_5:
	v_mov_b32_e32 v2, 0
.LBB5_6:
	v_mad_u64_u32 v[0:1], s[0:1], v1, s5, v[0:1]
	v_ashrrev_i32_e32 v1, 31, v0
	s_waitcnt lgkmcnt(0)
	v_lshl_add_u64 v[0:1], v[0:1], 1, s[2:3]
	global_store_short v[0:1], v2, off
.LBB5_7:
	s_endpgm
	.section	.rodata,"a",@progbits
	.p2align	6, 0x0
	.amdhsa_kernel _ZN2ck17naive_gemm_kernelINS_13tensor_layout4gemm8RowMajorENS2_11ColumnMajorES3_NS_9f8_fnuz_tENS_10bf8_fnuz_tEDF16_fNS_16tensor_operation12element_wise11PassThroughES9_S9_DF16_DF16_EEvPKT2_PKT3_PT4_iiiT6_T7_T8_
		.amdhsa_group_segment_fixed_size 0
		.amdhsa_private_segment_fixed_size 0
		.amdhsa_kernarg_size 296
		.amdhsa_user_sgpr_count 2
		.amdhsa_user_sgpr_dispatch_ptr 0
		.amdhsa_user_sgpr_queue_ptr 0
		.amdhsa_user_sgpr_kernarg_segment_ptr 1
		.amdhsa_user_sgpr_dispatch_id 0
		.amdhsa_user_sgpr_kernarg_preload_length 0
		.amdhsa_user_sgpr_kernarg_preload_offset 0
		.amdhsa_user_sgpr_private_segment_size 0
		.amdhsa_uses_dynamic_stack 0
		.amdhsa_enable_private_segment 0
		.amdhsa_system_sgpr_workgroup_id_x 1
		.amdhsa_system_sgpr_workgroup_id_y 1
		.amdhsa_system_sgpr_workgroup_id_z 0
		.amdhsa_system_sgpr_workgroup_info 0
		.amdhsa_system_vgpr_workitem_id 1
		.amdhsa_next_free_vgpr 9
		.amdhsa_next_free_sgpr 12
		.amdhsa_accum_offset 12
		.amdhsa_reserve_vcc 1
		.amdhsa_float_round_mode_32 0
		.amdhsa_float_round_mode_16_64 0
		.amdhsa_float_denorm_mode_32 3
		.amdhsa_float_denorm_mode_16_64 3
		.amdhsa_dx10_clamp 1
		.amdhsa_ieee_mode 1
		.amdhsa_fp16_overflow 0
		.amdhsa_tg_split 0
		.amdhsa_exception_fp_ieee_invalid_op 0
		.amdhsa_exception_fp_denorm_src 0
		.amdhsa_exception_fp_ieee_div_zero 0
		.amdhsa_exception_fp_ieee_overflow 0
		.amdhsa_exception_fp_ieee_underflow 0
		.amdhsa_exception_fp_ieee_inexact 0
		.amdhsa_exception_int_div_zero 0
	.end_amdhsa_kernel
	.section	.text._ZN2ck17naive_gemm_kernelINS_13tensor_layout4gemm8RowMajorENS2_11ColumnMajorES3_NS_9f8_fnuz_tENS_10bf8_fnuz_tEDF16_fNS_16tensor_operation12element_wise11PassThroughES9_S9_DF16_DF16_EEvPKT2_PKT3_PT4_iiiT6_T7_T8_,"axG",@progbits,_ZN2ck17naive_gemm_kernelINS_13tensor_layout4gemm8RowMajorENS2_11ColumnMajorES3_NS_9f8_fnuz_tENS_10bf8_fnuz_tEDF16_fNS_16tensor_operation12element_wise11PassThroughES9_S9_DF16_DF16_EEvPKT2_PKT3_PT4_iiiT6_T7_T8_,comdat
.Lfunc_end5:
	.size	_ZN2ck17naive_gemm_kernelINS_13tensor_layout4gemm8RowMajorENS2_11ColumnMajorES3_NS_9f8_fnuz_tENS_10bf8_fnuz_tEDF16_fNS_16tensor_operation12element_wise11PassThroughES9_S9_DF16_DF16_EEvPKT2_PKT3_PT4_iiiT6_T7_T8_, .Lfunc_end5-_ZN2ck17naive_gemm_kernelINS_13tensor_layout4gemm8RowMajorENS2_11ColumnMajorES3_NS_9f8_fnuz_tENS_10bf8_fnuz_tEDF16_fNS_16tensor_operation12element_wise11PassThroughES9_S9_DF16_DF16_EEvPKT2_PKT3_PT4_iiiT6_T7_T8_
                                        ; -- End function
	.set _ZN2ck17naive_gemm_kernelINS_13tensor_layout4gemm8RowMajorENS2_11ColumnMajorES3_NS_9f8_fnuz_tENS_10bf8_fnuz_tEDF16_fNS_16tensor_operation12element_wise11PassThroughES9_S9_DF16_DF16_EEvPKT2_PKT3_PT4_iiiT6_T7_T8_.num_vgpr, 9
	.set _ZN2ck17naive_gemm_kernelINS_13tensor_layout4gemm8RowMajorENS2_11ColumnMajorES3_NS_9f8_fnuz_tENS_10bf8_fnuz_tEDF16_fNS_16tensor_operation12element_wise11PassThroughES9_S9_DF16_DF16_EEvPKT2_PKT3_PT4_iiiT6_T7_T8_.num_agpr, 0
	.set _ZN2ck17naive_gemm_kernelINS_13tensor_layout4gemm8RowMajorENS2_11ColumnMajorES3_NS_9f8_fnuz_tENS_10bf8_fnuz_tEDF16_fNS_16tensor_operation12element_wise11PassThroughES9_S9_DF16_DF16_EEvPKT2_PKT3_PT4_iiiT6_T7_T8_.numbered_sgpr, 12
	.set _ZN2ck17naive_gemm_kernelINS_13tensor_layout4gemm8RowMajorENS2_11ColumnMajorES3_NS_9f8_fnuz_tENS_10bf8_fnuz_tEDF16_fNS_16tensor_operation12element_wise11PassThroughES9_S9_DF16_DF16_EEvPKT2_PKT3_PT4_iiiT6_T7_T8_.num_named_barrier, 0
	.set _ZN2ck17naive_gemm_kernelINS_13tensor_layout4gemm8RowMajorENS2_11ColumnMajorES3_NS_9f8_fnuz_tENS_10bf8_fnuz_tEDF16_fNS_16tensor_operation12element_wise11PassThroughES9_S9_DF16_DF16_EEvPKT2_PKT3_PT4_iiiT6_T7_T8_.private_seg_size, 0
	.set _ZN2ck17naive_gemm_kernelINS_13tensor_layout4gemm8RowMajorENS2_11ColumnMajorES3_NS_9f8_fnuz_tENS_10bf8_fnuz_tEDF16_fNS_16tensor_operation12element_wise11PassThroughES9_S9_DF16_DF16_EEvPKT2_PKT3_PT4_iiiT6_T7_T8_.uses_vcc, 1
	.set _ZN2ck17naive_gemm_kernelINS_13tensor_layout4gemm8RowMajorENS2_11ColumnMajorES3_NS_9f8_fnuz_tENS_10bf8_fnuz_tEDF16_fNS_16tensor_operation12element_wise11PassThroughES9_S9_DF16_DF16_EEvPKT2_PKT3_PT4_iiiT6_T7_T8_.uses_flat_scratch, 0
	.set _ZN2ck17naive_gemm_kernelINS_13tensor_layout4gemm8RowMajorENS2_11ColumnMajorES3_NS_9f8_fnuz_tENS_10bf8_fnuz_tEDF16_fNS_16tensor_operation12element_wise11PassThroughES9_S9_DF16_DF16_EEvPKT2_PKT3_PT4_iiiT6_T7_T8_.has_dyn_sized_stack, 0
	.set _ZN2ck17naive_gemm_kernelINS_13tensor_layout4gemm8RowMajorENS2_11ColumnMajorES3_NS_9f8_fnuz_tENS_10bf8_fnuz_tEDF16_fNS_16tensor_operation12element_wise11PassThroughES9_S9_DF16_DF16_EEvPKT2_PKT3_PT4_iiiT6_T7_T8_.has_recursion, 0
	.set _ZN2ck17naive_gemm_kernelINS_13tensor_layout4gemm8RowMajorENS2_11ColumnMajorES3_NS_9f8_fnuz_tENS_10bf8_fnuz_tEDF16_fNS_16tensor_operation12element_wise11PassThroughES9_S9_DF16_DF16_EEvPKT2_PKT3_PT4_iiiT6_T7_T8_.has_indirect_call, 0
	.section	.AMDGPU.csdata,"",@progbits
; Kernel info:
; codeLenInByte = 284
; TotalNumSgprs: 18
; NumVgprs: 9
; NumAgprs: 0
; TotalNumVgprs: 9
; ScratchSize: 0
; MemoryBound: 0
; FloatMode: 240
; IeeeMode: 1
; LDSByteSize: 0 bytes/workgroup (compile time only)
; SGPRBlocks: 2
; VGPRBlocks: 1
; NumSGPRsForWavesPerEU: 18
; NumVGPRsForWavesPerEU: 9
; AccumOffset: 12
; Occupancy: 8
; WaveLimiterHint : 0
; COMPUTE_PGM_RSRC2:SCRATCH_EN: 0
; COMPUTE_PGM_RSRC2:USER_SGPR: 2
; COMPUTE_PGM_RSRC2:TRAP_HANDLER: 0
; COMPUTE_PGM_RSRC2:TGID_X_EN: 1
; COMPUTE_PGM_RSRC2:TGID_Y_EN: 1
; COMPUTE_PGM_RSRC2:TGID_Z_EN: 0
; COMPUTE_PGM_RSRC2:TIDIG_COMP_CNT: 1
; COMPUTE_PGM_RSRC3_GFX90A:ACCUM_OFFSET: 2
; COMPUTE_PGM_RSRC3_GFX90A:TG_SPLIT: 0
	.section	.AMDGPU.gpr_maximums,"",@progbits
	.set amdgpu.max_num_vgpr, 0
	.set amdgpu.max_num_agpr, 0
	.set amdgpu.max_num_sgpr, 0
	.section	.AMDGPU.csdata,"",@progbits
	.type	__hip_cuid_3d2d6f4d86ed6f93,@object ; @__hip_cuid_3d2d6f4d86ed6f93
	.section	.bss,"aw",@nobits
	.globl	__hip_cuid_3d2d6f4d86ed6f93
__hip_cuid_3d2d6f4d86ed6f93:
	.byte	0                               ; 0x0
	.size	__hip_cuid_3d2d6f4d86ed6f93, 1

	.ident	"AMD clang version 22.0.0git (https://github.com/RadeonOpenCompute/llvm-project roc-7.2.4 26084 f58b06dce1f9c15707c5f808fd002e18c2accf7e)"
	.section	".note.GNU-stack","",@progbits
	.addrsig
	.addrsig_sym __hip_cuid_3d2d6f4d86ed6f93
	.amdgpu_metadata
---
amdhsa.kernels:
  - .agpr_count:     0
    .args:           []
    .group_segment_fixed_size: 0
    .kernarg_segment_align: 4
    .kernarg_segment_size: 0
    .language:       OpenCL C
    .language_version:
      - 2
      - 0
    .max_flat_workgroup_size: 1024
    .name:           _ZN2ckL12flush_icacheEv
    .private_segment_fixed_size: 0
    .sgpr_count:     6
    .sgpr_spill_count: 0
    .symbol:         _ZN2ckL12flush_icacheEv.kd
    .uniform_work_group_size: 1
    .uses_dynamic_stack: false
    .vgpr_count:     0
    .vgpr_spill_count: 0
    .wavefront_size: 64
  - .agpr_count:     0
    .args:
      - .offset:         0
        .size:           96
        .value_kind:     by_value
    .group_segment_fixed_size: 24672
    .kernarg_segment_align: 8
    .kernarg_segment_size: 96
    .language:       OpenCL C
    .language_version:
      - 2
      - 0
    .max_flat_workgroup_size: 256
    .name:           _ZN2ck27kernel_gemm_xdl_cshuffle_v1INS_43GridwiseGemm_k0mk1_k0nk1_mn_xdl_cshuffle_v1INS_13tensor_layout4gemm8RowMajorENS3_11ColumnMajorES4_NS_9f8_fnuz_tENS_10bf8_fnuz_tEffDF16_NS_16tensor_operation12element_wise11PassThroughESA_SA_LNS8_6device18GemmSpecializationE0ELNS_25InMemoryDataOperationEnumE0ELi1ELi256ELi256ELi128ELi64ELi16ELi16ELi16ELi16ELi8ELi4ENS_8SequenceIJLi4ELi64ELi1EEEENSE_IJLi1ELi0ELi2EEEESG_Li2ELi16ELi16ELb0ELi1ESF_SG_SG_Li2ELi8ELi8ELb0ELi1ELi1ELi1ENSE_IJLi1ELi32ELi1ELi8EEEELi4ELNS_13LoopSchedulerE0ELNS_15PipelineVersionE0ES6_S7_EELb1EEEvNT_8ArgumentE
    .private_segment_fixed_size: 0
    .sgpr_count:     35
    .sgpr_spill_count: 0
    .symbol:         _ZN2ck27kernel_gemm_xdl_cshuffle_v1INS_43GridwiseGemm_k0mk1_k0nk1_mn_xdl_cshuffle_v1INS_13tensor_layout4gemm8RowMajorENS3_11ColumnMajorES4_NS_9f8_fnuz_tENS_10bf8_fnuz_tEffDF16_NS_16tensor_operation12element_wise11PassThroughESA_SA_LNS8_6device18GemmSpecializationE0ELNS_25InMemoryDataOperationEnumE0ELi1ELi256ELi256ELi128ELi64ELi16ELi16ELi16ELi16ELi8ELi4ENS_8SequenceIJLi4ELi64ELi1EEEENSE_IJLi1ELi0ELi2EEEESG_Li2ELi16ELi16ELb0ELi1ESF_SG_SG_Li2ELi8ELi8ELb0ELi1ELi1ELi1ENSE_IJLi1ELi32ELi1ELi8EEEELi4ELNS_13LoopSchedulerE0ELNS_15PipelineVersionE0ES6_S7_EELb1EEEvNT_8ArgumentE.kd
    .uniform_work_group_size: 1
    .uses_dynamic_stack: false
    .vgpr_count:     210
    .vgpr_spill_count: 0
    .wavefront_size: 64
  - .agpr_count:     0
    .args:
      - .offset:         0
        .size:           96
        .value_kind:     by_value
    .group_segment_fixed_size: 24672
    .kernarg_segment_align: 8
    .kernarg_segment_size: 96
    .language:       OpenCL C
    .language_version:
      - 2
      - 0
    .max_flat_workgroup_size: 256
    .name:           _ZN2ck27kernel_gemm_xdl_cshuffle_v1INS_43GridwiseGemm_k0mk1_k0nk1_mn_xdl_cshuffle_v1INS_13tensor_layout4gemm8RowMajorENS3_11ColumnMajorES4_NS_9f8_fnuz_tENS_10bf8_fnuz_tEffDF16_NS_16tensor_operation12element_wise11PassThroughESA_SA_LNS8_6device18GemmSpecializationE0ELNS_25InMemoryDataOperationEnumE0ELi1ELi256ELi256ELi128ELi64ELi16ELi16ELi16ELi16ELi8ELi4ENS_8SequenceIJLi4ELi64ELi1EEEENSE_IJLi1ELi0ELi2EEEESG_Li2ELi16ELi16ELb0ELi1ESF_SG_SG_Li2ELi8ELi8ELb0ELi1ELi1ELi1ENSE_IJLi1ELi32ELi1ELi8EEEELi4ELNS_13LoopSchedulerE0ELNS_15PipelineVersionE0ES6_S7_EELb0EEEvNT_8ArgumentE
    .private_segment_fixed_size: 0
    .sgpr_count:     29
    .sgpr_spill_count: 0
    .symbol:         _ZN2ck27kernel_gemm_xdl_cshuffle_v1INS_43GridwiseGemm_k0mk1_k0nk1_mn_xdl_cshuffle_v1INS_13tensor_layout4gemm8RowMajorENS3_11ColumnMajorES4_NS_9f8_fnuz_tENS_10bf8_fnuz_tEffDF16_NS_16tensor_operation12element_wise11PassThroughESA_SA_LNS8_6device18GemmSpecializationE0ELNS_25InMemoryDataOperationEnumE0ELi1ELi256ELi256ELi128ELi64ELi16ELi16ELi16ELi16ELi8ELi4ENS_8SequenceIJLi4ELi64ELi1EEEENSE_IJLi1ELi0ELi2EEEESG_Li2ELi16ELi16ELb0ELi1ESF_SG_SG_Li2ELi8ELi8ELb0ELi1ELi1ELi1ENSE_IJLi1ELi32ELi1ELi8EEEELi4ELNS_13LoopSchedulerE0ELNS_15PipelineVersionE0ES6_S7_EELb0EEEvNT_8ArgumentE.kd
    .uniform_work_group_size: 1
    .uses_dynamic_stack: false
    .vgpr_count:     98
    .vgpr_spill_count: 0
    .wavefront_size: 64
  - .agpr_count:     0
    .args:
      - .offset:         0
        .size:           96
        .value_kind:     by_value
    .group_segment_fixed_size: 0
    .kernarg_segment_align: 8
    .kernarg_segment_size: 96
    .language:       OpenCL C
    .language_version:
      - 2
      - 0
    .max_flat_workgroup_size: 256
    .name:           _ZN2ck27kernel_gemm_xdl_cshuffle_v1INS_43GridwiseGemm_k0mk1_k0nk1_mn_xdl_cshuffle_v1INS_13tensor_layout4gemm8RowMajorENS3_11ColumnMajorES4_NS_9f8_fnuz_tENS_10bf8_fnuz_tEffDF16_NS_16tensor_operation12element_wise11PassThroughESA_SA_LNS8_6device18GemmSpecializationE0ELNS_25InMemoryDataOperationEnumE0ELi1ELi256ELi256ELi128ELi64ELi16ELi16ELi16ELi16ELi8ELi2ENS_8SequenceIJLi4ELi64ELi1EEEENSE_IJLi1ELi0ELi2EEEESG_Li2ELi16ELi16ELb0ELi1ESF_SG_SG_Li2ELi8ELi8ELb0ELi1ELi1ELi1ENSE_IJLi1ELi32ELi1ELi8EEEELi4ELNS_13LoopSchedulerE0ELNS_15PipelineVersionE0ES6_S7_EELb1EEEvNT_8ArgumentE
    .private_segment_fixed_size: 0
    .sgpr_count:     6
    .sgpr_spill_count: 0
    .symbol:         _ZN2ck27kernel_gemm_xdl_cshuffle_v1INS_43GridwiseGemm_k0mk1_k0nk1_mn_xdl_cshuffle_v1INS_13tensor_layout4gemm8RowMajorENS3_11ColumnMajorES4_NS_9f8_fnuz_tENS_10bf8_fnuz_tEffDF16_NS_16tensor_operation12element_wise11PassThroughESA_SA_LNS8_6device18GemmSpecializationE0ELNS_25InMemoryDataOperationEnumE0ELi1ELi256ELi256ELi128ELi64ELi16ELi16ELi16ELi16ELi8ELi2ENS_8SequenceIJLi4ELi64ELi1EEEENSE_IJLi1ELi0ELi2EEEESG_Li2ELi16ELi16ELb0ELi1ESF_SG_SG_Li2ELi8ELi8ELb0ELi1ELi1ELi1ENSE_IJLi1ELi32ELi1ELi8EEEELi4ELNS_13LoopSchedulerE0ELNS_15PipelineVersionE0ES6_S7_EELb1EEEvNT_8ArgumentE.kd
    .uniform_work_group_size: 1
    .uses_dynamic_stack: false
    .vgpr_count:     0
    .vgpr_spill_count: 0
    .wavefront_size: 64
  - .agpr_count:     0
    .args:
      - .offset:         0
        .size:           96
        .value_kind:     by_value
    .group_segment_fixed_size: 0
    .kernarg_segment_align: 8
    .kernarg_segment_size: 96
    .language:       OpenCL C
    .language_version:
      - 2
      - 0
    .max_flat_workgroup_size: 256
    .name:           _ZN2ck27kernel_gemm_xdl_cshuffle_v1INS_43GridwiseGemm_k0mk1_k0nk1_mn_xdl_cshuffle_v1INS_13tensor_layout4gemm8RowMajorENS3_11ColumnMajorES4_NS_9f8_fnuz_tENS_10bf8_fnuz_tEffDF16_NS_16tensor_operation12element_wise11PassThroughESA_SA_LNS8_6device18GemmSpecializationE0ELNS_25InMemoryDataOperationEnumE0ELi1ELi256ELi256ELi128ELi64ELi16ELi16ELi16ELi16ELi8ELi2ENS_8SequenceIJLi4ELi64ELi1EEEENSE_IJLi1ELi0ELi2EEEESG_Li2ELi16ELi16ELb0ELi1ESF_SG_SG_Li2ELi8ELi8ELb0ELi1ELi1ELi1ENSE_IJLi1ELi32ELi1ELi8EEEELi4ELNS_13LoopSchedulerE0ELNS_15PipelineVersionE0ES6_S7_EELb0EEEvNT_8ArgumentE
    .private_segment_fixed_size: 0
    .sgpr_count:     6
    .sgpr_spill_count: 0
    .symbol:         _ZN2ck27kernel_gemm_xdl_cshuffle_v1INS_43GridwiseGemm_k0mk1_k0nk1_mn_xdl_cshuffle_v1INS_13tensor_layout4gemm8RowMajorENS3_11ColumnMajorES4_NS_9f8_fnuz_tENS_10bf8_fnuz_tEffDF16_NS_16tensor_operation12element_wise11PassThroughESA_SA_LNS8_6device18GemmSpecializationE0ELNS_25InMemoryDataOperationEnumE0ELi1ELi256ELi256ELi128ELi64ELi16ELi16ELi16ELi16ELi8ELi2ENS_8SequenceIJLi4ELi64ELi1EEEENSE_IJLi1ELi0ELi2EEEESG_Li2ELi16ELi16ELb0ELi1ESF_SG_SG_Li2ELi8ELi8ELb0ELi1ELi1ELi1ENSE_IJLi1ELi32ELi1ELi8EEEELi4ELNS_13LoopSchedulerE0ELNS_15PipelineVersionE0ES6_S7_EELb0EEEvNT_8ArgumentE.kd
    .uniform_work_group_size: 1
    .uses_dynamic_stack: false
    .vgpr_count:     0
    .vgpr_spill_count: 0
    .wavefront_size: 64
  - .agpr_count:     0
    .args:
      - .actual_access:  read_only
        .address_space:  global
        .offset:         0
        .size:           8
        .value_kind:     global_buffer
      - .actual_access:  read_only
        .address_space:  global
        .offset:         8
        .size:           8
        .value_kind:     global_buffer
      - .actual_access:  write_only
        .address_space:  global
        .offset:         16
        .size:           8
        .value_kind:     global_buffer
      - .offset:         24
        .size:           4
        .value_kind:     by_value
      - .offset:         28
        .size:           4
        .value_kind:     by_value
      - .offset:         32
        .size:           4
        .value_kind:     by_value
      - .offset:         36
        .size:           1
        .value_kind:     by_value
      - .offset:         37
        .size:           1
        .value_kind:     by_value
      - .offset:         38
        .size:           1
        .value_kind:     by_value
      - .offset:         40
        .size:           4
        .value_kind:     hidden_block_count_x
      - .offset:         44
        .size:           4
        .value_kind:     hidden_block_count_y
      - .offset:         48
        .size:           4
        .value_kind:     hidden_block_count_z
      - .offset:         52
        .size:           2
        .value_kind:     hidden_group_size_x
      - .offset:         54
        .size:           2
        .value_kind:     hidden_group_size_y
      - .offset:         56
        .size:           2
        .value_kind:     hidden_group_size_z
      - .offset:         58
        .size:           2
        .value_kind:     hidden_remainder_x
      - .offset:         60
        .size:           2
        .value_kind:     hidden_remainder_y
      - .offset:         62
        .size:           2
        .value_kind:     hidden_remainder_z
      - .offset:         80
        .size:           8
        .value_kind:     hidden_global_offset_x
      - .offset:         88
        .size:           8
        .value_kind:     hidden_global_offset_y
      - .offset:         96
        .size:           8
        .value_kind:     hidden_global_offset_z
      - .offset:         104
        .size:           2
        .value_kind:     hidden_grid_dims
    .group_segment_fixed_size: 0
    .kernarg_segment_align: 8
    .kernarg_segment_size: 296
    .language:       OpenCL C
    .language_version:
      - 2
      - 0
    .max_flat_workgroup_size: 256
    .name:           _ZN2ck17naive_gemm_kernelINS_13tensor_layout4gemm8RowMajorENS2_11ColumnMajorES3_NS_9f8_fnuz_tENS_10bf8_fnuz_tEDF16_fNS_16tensor_operation12element_wise11PassThroughES9_S9_DF16_DF16_EEvPKT2_PKT3_PT4_iiiT6_T7_T8_
    .private_segment_fixed_size: 0
    .sgpr_count:     18
    .sgpr_spill_count: 0
    .symbol:         _ZN2ck17naive_gemm_kernelINS_13tensor_layout4gemm8RowMajorENS2_11ColumnMajorES3_NS_9f8_fnuz_tENS_10bf8_fnuz_tEDF16_fNS_16tensor_operation12element_wise11PassThroughES9_S9_DF16_DF16_EEvPKT2_PKT3_PT4_iiiT6_T7_T8_.kd
    .uniform_work_group_size: 1
    .uses_dynamic_stack: false
    .vgpr_count:     9
    .vgpr_spill_count: 0
    .wavefront_size: 64
amdhsa.target:   amdgcn-amd-amdhsa--gfx950
amdhsa.version:
  - 1
  - 2
...

	.end_amdgpu_metadata
